;; amdgpu-corpus repo=ROCm/rocFFT kind=compiled arch=gfx1100 opt=O3
	.text
	.amdgcn_target "amdgcn-amd-amdhsa--gfx1100"
	.amdhsa_code_object_version 6
	.protected	fft_rtc_fwd_len884_factors_13_4_17_wgs_204_tpt_68_halfLds_dp_ip_CI_sbrr_dirReg ; -- Begin function fft_rtc_fwd_len884_factors_13_4_17_wgs_204_tpt_68_halfLds_dp_ip_CI_sbrr_dirReg
	.globl	fft_rtc_fwd_len884_factors_13_4_17_wgs_204_tpt_68_halfLds_dp_ip_CI_sbrr_dirReg
	.p2align	8
	.type	fft_rtc_fwd_len884_factors_13_4_17_wgs_204_tpt_68_halfLds_dp_ip_CI_sbrr_dirReg,@function
fft_rtc_fwd_len884_factors_13_4_17_wgs_204_tpt_68_halfLds_dp_ip_CI_sbrr_dirReg: ; @fft_rtc_fwd_len884_factors_13_4_17_wgs_204_tpt_68_halfLds_dp_ip_CI_sbrr_dirReg
; %bb.0:
	s_clause 0x1
	s_load_b64 s[12:13], s[0:1], 0x18
	s_load_b128 s[4:7], s[0:1], 0x0
	v_mul_u32_u24_e32 v1, 0x3c4, v0
	s_load_b64 s[10:11], s[0:1], 0x50
	s_waitcnt lgkmcnt(0)
	s_load_b64 s[8:9], s[12:13], 0x0
	s_delay_alu instid0(VALU_DEP_1) | instskip(SKIP_2) | instid1(VALU_DEP_3)
	v_lshrrev_b32_e32 v2, 16, v1
	v_mov_b32_e32 v1, 0
	v_cmp_lt_u64_e64 s2, s[6:7], 2
	v_mad_u64_u32 v[52:53], null, s15, 3, v[2:3]
	v_mov_b32_e32 v3, 0
	s_delay_alu instid0(VALU_DEP_4) | instskip(NEXT) | instid1(VALU_DEP_4)
	v_dual_mov_b32 v4, 0 :: v_dual_mov_b32 v53, v1
	s_and_b32 vcc_lo, exec_lo, s2
	s_delay_alu instid0(VALU_DEP_1)
	v_dual_mov_b32 v7, v52 :: v_dual_mov_b32 v8, v53
	s_cbranch_vccnz .LBB0_8
; %bb.1:
	s_load_b64 s[2:3], s[0:1], 0x10
	v_mov_b32_e32 v3, 0
	v_dual_mov_b32 v4, 0 :: v_dual_mov_b32 v5, v52
	s_add_u32 s14, s12, 8
	v_mov_b32_e32 v6, v53
	s_addc_u32 s15, s13, 0
	s_mov_b64 s[18:19], 1
	s_waitcnt lgkmcnt(0)
	s_add_u32 s16, s2, 8
	s_addc_u32 s17, s3, 0
.LBB0_2:                                ; =>This Inner Loop Header: Depth=1
	s_load_b64 s[20:21], s[16:17], 0x0
                                        ; implicit-def: $vgpr7_vgpr8
	s_mov_b32 s2, exec_lo
	s_waitcnt lgkmcnt(0)
	v_or_b32_e32 v2, s21, v6
	s_delay_alu instid0(VALU_DEP_1)
	v_cmpx_ne_u64_e32 0, v[1:2]
	s_xor_b32 s3, exec_lo, s2
	s_cbranch_execz .LBB0_4
; %bb.3:                                ;   in Loop: Header=BB0_2 Depth=1
	v_cvt_f32_u32_e32 v2, s20
	v_cvt_f32_u32_e32 v7, s21
	s_sub_u32 s2, 0, s20
	s_subb_u32 s22, 0, s21
	s_delay_alu instid0(VALU_DEP_1) | instskip(NEXT) | instid1(VALU_DEP_1)
	v_fmac_f32_e32 v2, 0x4f800000, v7
	v_rcp_f32_e32 v2, v2
	s_waitcnt_depctr 0xfff
	v_mul_f32_e32 v2, 0x5f7ffffc, v2
	s_delay_alu instid0(VALU_DEP_1) | instskip(NEXT) | instid1(VALU_DEP_1)
	v_mul_f32_e32 v7, 0x2f800000, v2
	v_trunc_f32_e32 v7, v7
	s_delay_alu instid0(VALU_DEP_1) | instskip(SKIP_1) | instid1(VALU_DEP_2)
	v_fmac_f32_e32 v2, 0xcf800000, v7
	v_cvt_u32_f32_e32 v7, v7
	v_cvt_u32_f32_e32 v2, v2
	s_delay_alu instid0(VALU_DEP_2) | instskip(NEXT) | instid1(VALU_DEP_2)
	v_mul_lo_u32 v8, s2, v7
	v_mul_hi_u32 v9, s2, v2
	v_mul_lo_u32 v10, s22, v2
	s_delay_alu instid0(VALU_DEP_2) | instskip(SKIP_1) | instid1(VALU_DEP_2)
	v_add_nc_u32_e32 v8, v9, v8
	v_mul_lo_u32 v9, s2, v2
	v_add_nc_u32_e32 v8, v8, v10
	s_delay_alu instid0(VALU_DEP_2) | instskip(NEXT) | instid1(VALU_DEP_2)
	v_mul_hi_u32 v10, v2, v9
	v_mul_lo_u32 v11, v2, v8
	v_mul_hi_u32 v12, v2, v8
	v_mul_hi_u32 v13, v7, v9
	v_mul_lo_u32 v9, v7, v9
	v_mul_hi_u32 v14, v7, v8
	v_mul_lo_u32 v8, v7, v8
	v_add_co_u32 v10, vcc_lo, v10, v11
	v_add_co_ci_u32_e32 v11, vcc_lo, 0, v12, vcc_lo
	s_delay_alu instid0(VALU_DEP_2) | instskip(NEXT) | instid1(VALU_DEP_2)
	v_add_co_u32 v9, vcc_lo, v10, v9
	v_add_co_ci_u32_e32 v9, vcc_lo, v11, v13, vcc_lo
	v_add_co_ci_u32_e32 v10, vcc_lo, 0, v14, vcc_lo
	s_delay_alu instid0(VALU_DEP_2) | instskip(NEXT) | instid1(VALU_DEP_2)
	v_add_co_u32 v8, vcc_lo, v9, v8
	v_add_co_ci_u32_e32 v9, vcc_lo, 0, v10, vcc_lo
	s_delay_alu instid0(VALU_DEP_2) | instskip(NEXT) | instid1(VALU_DEP_2)
	v_add_co_u32 v2, vcc_lo, v2, v8
	v_add_co_ci_u32_e32 v7, vcc_lo, v7, v9, vcc_lo
	s_delay_alu instid0(VALU_DEP_2) | instskip(SKIP_1) | instid1(VALU_DEP_3)
	v_mul_hi_u32 v8, s2, v2
	v_mul_lo_u32 v10, s22, v2
	v_mul_lo_u32 v9, s2, v7
	s_delay_alu instid0(VALU_DEP_1) | instskip(SKIP_1) | instid1(VALU_DEP_2)
	v_add_nc_u32_e32 v8, v8, v9
	v_mul_lo_u32 v9, s2, v2
	v_add_nc_u32_e32 v8, v8, v10
	s_delay_alu instid0(VALU_DEP_2) | instskip(NEXT) | instid1(VALU_DEP_2)
	v_mul_hi_u32 v10, v2, v9
	v_mul_lo_u32 v11, v2, v8
	v_mul_hi_u32 v12, v2, v8
	v_mul_hi_u32 v13, v7, v9
	v_mul_lo_u32 v9, v7, v9
	v_mul_hi_u32 v14, v7, v8
	v_mul_lo_u32 v8, v7, v8
	v_add_co_u32 v10, vcc_lo, v10, v11
	v_add_co_ci_u32_e32 v11, vcc_lo, 0, v12, vcc_lo
	s_delay_alu instid0(VALU_DEP_2) | instskip(NEXT) | instid1(VALU_DEP_2)
	v_add_co_u32 v9, vcc_lo, v10, v9
	v_add_co_ci_u32_e32 v9, vcc_lo, v11, v13, vcc_lo
	v_add_co_ci_u32_e32 v10, vcc_lo, 0, v14, vcc_lo
	s_delay_alu instid0(VALU_DEP_2) | instskip(NEXT) | instid1(VALU_DEP_2)
	v_add_co_u32 v8, vcc_lo, v9, v8
	v_add_co_ci_u32_e32 v9, vcc_lo, 0, v10, vcc_lo
	s_delay_alu instid0(VALU_DEP_2) | instskip(NEXT) | instid1(VALU_DEP_2)
	v_add_co_u32 v2, vcc_lo, v2, v8
	v_add_co_ci_u32_e32 v13, vcc_lo, v7, v9, vcc_lo
	s_delay_alu instid0(VALU_DEP_2) | instskip(SKIP_1) | instid1(VALU_DEP_3)
	v_mul_hi_u32 v14, v5, v2
	v_mad_u64_u32 v[9:10], null, v6, v2, 0
	v_mad_u64_u32 v[7:8], null, v5, v13, 0
	;; [unrolled: 1-line block ×3, first 2 shown]
	s_delay_alu instid0(VALU_DEP_2) | instskip(NEXT) | instid1(VALU_DEP_3)
	v_add_co_u32 v2, vcc_lo, v14, v7
	v_add_co_ci_u32_e32 v7, vcc_lo, 0, v8, vcc_lo
	s_delay_alu instid0(VALU_DEP_2) | instskip(NEXT) | instid1(VALU_DEP_2)
	v_add_co_u32 v2, vcc_lo, v2, v9
	v_add_co_ci_u32_e32 v2, vcc_lo, v7, v10, vcc_lo
	v_add_co_ci_u32_e32 v7, vcc_lo, 0, v12, vcc_lo
	s_delay_alu instid0(VALU_DEP_2) | instskip(NEXT) | instid1(VALU_DEP_2)
	v_add_co_u32 v2, vcc_lo, v2, v11
	v_add_co_ci_u32_e32 v9, vcc_lo, 0, v7, vcc_lo
	s_delay_alu instid0(VALU_DEP_2) | instskip(SKIP_1) | instid1(VALU_DEP_3)
	v_mul_lo_u32 v10, s21, v2
	v_mad_u64_u32 v[7:8], null, s20, v2, 0
	v_mul_lo_u32 v11, s20, v9
	s_delay_alu instid0(VALU_DEP_2) | instskip(NEXT) | instid1(VALU_DEP_2)
	v_sub_co_u32 v7, vcc_lo, v5, v7
	v_add3_u32 v8, v8, v11, v10
	s_delay_alu instid0(VALU_DEP_1) | instskip(NEXT) | instid1(VALU_DEP_1)
	v_sub_nc_u32_e32 v10, v6, v8
	v_subrev_co_ci_u32_e64 v10, s2, s21, v10, vcc_lo
	v_add_co_u32 v11, s2, v2, 2
	s_delay_alu instid0(VALU_DEP_1) | instskip(SKIP_3) | instid1(VALU_DEP_3)
	v_add_co_ci_u32_e64 v12, s2, 0, v9, s2
	v_sub_co_u32 v13, s2, v7, s20
	v_sub_co_ci_u32_e32 v8, vcc_lo, v6, v8, vcc_lo
	v_subrev_co_ci_u32_e64 v10, s2, 0, v10, s2
	v_cmp_le_u32_e32 vcc_lo, s20, v13
	s_delay_alu instid0(VALU_DEP_3) | instskip(SKIP_1) | instid1(VALU_DEP_4)
	v_cmp_eq_u32_e64 s2, s21, v8
	v_cndmask_b32_e64 v13, 0, -1, vcc_lo
	v_cmp_le_u32_e32 vcc_lo, s21, v10
	v_cndmask_b32_e64 v14, 0, -1, vcc_lo
	v_cmp_le_u32_e32 vcc_lo, s20, v7
	;; [unrolled: 2-line block ×3, first 2 shown]
	v_cndmask_b32_e64 v15, 0, -1, vcc_lo
	v_cmp_eq_u32_e32 vcc_lo, s21, v10
	s_delay_alu instid0(VALU_DEP_2) | instskip(SKIP_3) | instid1(VALU_DEP_3)
	v_cndmask_b32_e64 v7, v15, v7, s2
	v_cndmask_b32_e32 v10, v14, v13, vcc_lo
	v_add_co_u32 v13, vcc_lo, v2, 1
	v_add_co_ci_u32_e32 v14, vcc_lo, 0, v9, vcc_lo
	v_cmp_ne_u32_e32 vcc_lo, 0, v10
	s_delay_alu instid0(VALU_DEP_2) | instskip(NEXT) | instid1(VALU_DEP_4)
	v_cndmask_b32_e32 v8, v14, v12, vcc_lo
	v_cndmask_b32_e32 v10, v13, v11, vcc_lo
	v_cmp_ne_u32_e32 vcc_lo, 0, v7
	s_delay_alu instid0(VALU_DEP_2)
	v_dual_cndmask_b32 v7, v2, v10 :: v_dual_cndmask_b32 v8, v9, v8
.LBB0_4:                                ;   in Loop: Header=BB0_2 Depth=1
	s_and_not1_saveexec_b32 s2, s3
	s_cbranch_execz .LBB0_6
; %bb.5:                                ;   in Loop: Header=BB0_2 Depth=1
	v_cvt_f32_u32_e32 v2, s20
	s_sub_i32 s3, 0, s20
	s_delay_alu instid0(VALU_DEP_1) | instskip(SKIP_2) | instid1(VALU_DEP_1)
	v_rcp_iflag_f32_e32 v2, v2
	s_waitcnt_depctr 0xfff
	v_mul_f32_e32 v2, 0x4f7ffffe, v2
	v_cvt_u32_f32_e32 v2, v2
	s_delay_alu instid0(VALU_DEP_1) | instskip(NEXT) | instid1(VALU_DEP_1)
	v_mul_lo_u32 v7, s3, v2
	v_mul_hi_u32 v7, v2, v7
	s_delay_alu instid0(VALU_DEP_1) | instskip(NEXT) | instid1(VALU_DEP_1)
	v_add_nc_u32_e32 v2, v2, v7
	v_mul_hi_u32 v2, v5, v2
	s_delay_alu instid0(VALU_DEP_1) | instskip(SKIP_1) | instid1(VALU_DEP_2)
	v_mul_lo_u32 v7, v2, s20
	v_add_nc_u32_e32 v8, 1, v2
	v_sub_nc_u32_e32 v7, v5, v7
	s_delay_alu instid0(VALU_DEP_1) | instskip(SKIP_1) | instid1(VALU_DEP_2)
	v_subrev_nc_u32_e32 v9, s20, v7
	v_cmp_le_u32_e32 vcc_lo, s20, v7
	v_dual_cndmask_b32 v7, v7, v9 :: v_dual_cndmask_b32 v2, v2, v8
	s_delay_alu instid0(VALU_DEP_1) | instskip(NEXT) | instid1(VALU_DEP_2)
	v_cmp_le_u32_e32 vcc_lo, s20, v7
	v_add_nc_u32_e32 v8, 1, v2
	s_delay_alu instid0(VALU_DEP_1)
	v_dual_cndmask_b32 v7, v2, v8 :: v_dual_mov_b32 v8, v1
.LBB0_6:                                ;   in Loop: Header=BB0_2 Depth=1
	s_or_b32 exec_lo, exec_lo, s2
	s_load_b64 s[2:3], s[14:15], 0x0
	s_delay_alu instid0(VALU_DEP_1) | instskip(NEXT) | instid1(VALU_DEP_2)
	v_mul_lo_u32 v2, v8, s20
	v_mul_lo_u32 v11, v7, s21
	v_mad_u64_u32 v[9:10], null, v7, s20, 0
	s_add_u32 s18, s18, 1
	s_addc_u32 s19, s19, 0
	s_add_u32 s14, s14, 8
	s_addc_u32 s15, s15, 0
	;; [unrolled: 2-line block ×3, first 2 shown]
	s_delay_alu instid0(VALU_DEP_1) | instskip(SKIP_1) | instid1(VALU_DEP_2)
	v_add3_u32 v2, v10, v11, v2
	v_sub_co_u32 v9, vcc_lo, v5, v9
	v_sub_co_ci_u32_e32 v2, vcc_lo, v6, v2, vcc_lo
	s_waitcnt lgkmcnt(0)
	s_delay_alu instid0(VALU_DEP_2) | instskip(NEXT) | instid1(VALU_DEP_2)
	v_mul_lo_u32 v10, s3, v9
	v_mul_lo_u32 v2, s2, v2
	v_mad_u64_u32 v[5:6], null, s2, v9, v[3:4]
	v_cmp_ge_u64_e64 s2, s[18:19], s[6:7]
	s_delay_alu instid0(VALU_DEP_1) | instskip(NEXT) | instid1(VALU_DEP_2)
	s_and_b32 vcc_lo, exec_lo, s2
	v_add3_u32 v4, v10, v6, v2
	s_delay_alu instid0(VALU_DEP_3)
	v_mov_b32_e32 v3, v5
	s_cbranch_vccnz .LBB0_8
; %bb.7:                                ;   in Loop: Header=BB0_2 Depth=1
	v_dual_mov_b32 v5, v7 :: v_dual_mov_b32 v6, v8
	s_branch .LBB0_2
.LBB0_8:
	s_lshl_b64 s[2:3], s[6:7], 3
	v_mul_hi_u32 v1, 0x3c3c3c4, v0
	s_add_u32 s2, s12, s2
	s_addc_u32 s3, s13, s3
	s_load_b64 s[0:1], s[0:1], 0x20
	s_load_b64 s[2:3], s[2:3], 0x0
	s_delay_alu instid0(VALU_DEP_1) | instskip(NEXT) | instid1(VALU_DEP_1)
	v_mul_u32_u24_e32 v1, 0x44, v1
	v_sub_nc_u32_e32 v146, v0, v1
	s_delay_alu instid0(VALU_DEP_1)
	v_add_nc_u32_e32 v72, 0x44, v146
	v_add_nc_u32_e32 v73, 0x88, v146
	;; [unrolled: 1-line block ×3, first 2 shown]
	s_waitcnt lgkmcnt(0)
	v_cmp_gt_u64_e32 vcc_lo, s[0:1], v[7:8]
	v_mul_lo_u32 v2, s2, v8
	v_mul_lo_u32 v5, s3, v7
	v_mad_u64_u32 v[0:1], null, s2, v7, v[3:4]
	v_cmp_le_u64_e64 s0, s[0:1], v[7:8]
	s_delay_alu instid0(VALU_DEP_2) | instskip(NEXT) | instid1(VALU_DEP_2)
	v_add3_u32 v1, v5, v1, v2
	s_and_saveexec_b32 s1, s0
	s_delay_alu instid0(SALU_CYCLE_1)
	s_xor_b32 s0, exec_lo, s1
; %bb.9:
	v_add_nc_u32_e32 v72, 0x44, v146
	v_add_nc_u32_e32 v73, 0x88, v146
	;; [unrolled: 1-line block ×3, first 2 shown]
; %bb.10:
	s_or_saveexec_b32 s1, s0
	v_lshlrev_b64 v[163:164], 4, v[0:1]
                                        ; implicit-def: $vgpr34_vgpr35
                                        ; implicit-def: $vgpr46_vgpr47
                                        ; implicit-def: $vgpr14_vgpr15
                                        ; implicit-def: $vgpr22_vgpr23
                                        ; implicit-def: $vgpr30_vgpr31
                                        ; implicit-def: $vgpr18_vgpr19
                                        ; implicit-def: $vgpr6_vgpr7
                                        ; implicit-def: $vgpr10_vgpr11
                                        ; implicit-def: $vgpr50_vgpr51
                                        ; implicit-def: $vgpr26_vgpr27
                                        ; implicit-def: $vgpr38_vgpr39
                                        ; implicit-def: $vgpr42_vgpr43
                                        ; implicit-def: $vgpr2_vgpr3
	s_xor_b32 exec_lo, exec_lo, s1
	s_cbranch_execz .LBB0_12
; %bb.11:
	v_mad_u64_u32 v[0:1], null, s8, v146, 0
	v_mad_u64_u32 v[2:3], null, s8, v72, 0
	;; [unrolled: 1-line block ×3, first 2 shown]
	v_add_nc_u32_e32 v15, 0x110, v146
	v_add_co_u32 v50, s0, s10, v163
	s_delay_alu instid0(VALU_DEP_1)
	v_add_co_ci_u32_e64 v51, s0, s11, v164, s0
	v_mad_u64_u32 v[4:5], null, s9, v146, v[1:2]
	v_mad_u64_u32 v[5:6], null, s8, v73, 0
	v_dual_mov_b32 v1, v3 :: v_dual_add_nc_u32 v16, 0x154, v146
	v_add_nc_u32_e32 v18, 0x198, v146
	v_add_nc_u32_e32 v19, 0x1dc, v146
	;; [unrolled: 1-line block ×3, first 2 shown]
	s_delay_alu instid0(VALU_DEP_4) | instskip(SKIP_2) | instid1(VALU_DEP_2)
	v_mad_u64_u32 v[9:10], null, s9, v72, v[1:2]
	v_dual_mov_b32 v1, v4 :: v_dual_mov_b32 v4, v6
	v_dual_mov_b32 v6, v8 :: v_dual_add_nc_u32 v53, 0x2ec, v146
	v_lshlrev_b64 v[0:1], 4, v[0:1]
	s_delay_alu instid0(VALU_DEP_4) | instskip(NEXT) | instid1(VALU_DEP_4)
	v_mov_b32_e32 v3, v9
	v_mad_u64_u32 v[8:9], null, s9, v73, v[4:5]
	s_delay_alu instid0(VALU_DEP_4) | instskip(NEXT) | instid1(VALU_DEP_4)
	v_mad_u64_u32 v[11:12], null, s9, v108, v[6:7]
	v_add_co_u32 v0, s0, v50, v0
	v_mad_u64_u32 v[12:13], null, s8, v15, 0
	s_delay_alu instid0(VALU_DEP_4) | instskip(SKIP_3) | instid1(VALU_DEP_4)
	v_mov_b32_e32 v6, v8
	v_lshlrev_b64 v[2:3], 4, v[2:3]
	v_add_co_ci_u32_e64 v1, s0, v51, v1, s0
	v_mov_b32_e32 v8, v11
	v_lshlrev_b64 v[4:5], 4, v[5:6]
	v_mov_b32_e32 v6, v13
	v_add_co_u32 v9, s0, v50, v2
	s_delay_alu instid0(VALU_DEP_1)
	v_add_co_ci_u32_e64 v10, s0, v51, v3, s0
	v_lshlrev_b64 v[7:8], 4, v[7:8]
	s_clause 0x1
	global_load_b128 v[0:3], v[0:1], off
	global_load_b128 v[32:35], v[9:10], off
	v_mad_u64_u32 v[9:10], null, s8, v16, 0
	v_add_co_u32 v4, s0, v50, v4
	v_mad_u64_u32 v[13:14], null, s9, v15, v[6:7]
	v_mad_u64_u32 v[14:15], null, s8, v18, 0
	v_add_co_ci_u32_e64 v5, s0, v51, v5, s0
	v_mov_b32_e32 v6, v10
	v_add_co_u32 v7, s0, v50, v7
	s_delay_alu instid0(VALU_DEP_1)
	v_add_co_ci_u32_e64 v8, s0, v51, v8, s0
	s_clause 0x1
	global_load_b128 v[44:47], v[4:5], off
	global_load_b128 v[40:43], v[7:8], off
	v_mad_u64_u32 v[10:11], null, s9, v16, v[6:7]
	v_mad_u64_u32 v[16:17], null, s8, v19, 0
	v_mov_b32_e32 v6, v15
	v_lshlrev_b64 v[4:5], 4, v[12:13]
	v_mad_u64_u32 v[28:29], null, s8, v53, 0
	s_delay_alu instid0(VALU_DEP_3) | instskip(SKIP_3) | instid1(VALU_DEP_1)
	v_mad_u64_u32 v[7:8], null, s9, v18, v[6:7]
	v_mov_b32_e32 v6, v17
	v_lshlrev_b64 v[8:9], 4, v[9:10]
	v_add_co_u32 v4, s0, v50, v4
	v_add_co_ci_u32_e64 v5, s0, v51, v5, s0
	s_delay_alu instid0(VALU_DEP_4) | instskip(SKIP_3) | instid1(VALU_DEP_1)
	v_mad_u64_u32 v[10:11], null, s9, v19, v[6:7]
	v_add_nc_u32_e32 v11, 0x220, v146
	v_mov_b32_e32 v15, v7
	v_add_co_u32 v6, s0, v50, v8
	v_add_co_ci_u32_e64 v7, s0, v51, v9, s0
	s_delay_alu instid0(VALU_DEP_4) | instskip(NEXT) | instid1(VALU_DEP_4)
	v_mad_u64_u32 v[18:19], null, s8, v11, 0
	v_lshlrev_b64 v[8:9], 4, v[14:15]
	v_mov_b32_e32 v17, v10
	s_clause 0x1
	global_load_b128 v[36:39], v[4:5], off
	global_load_b128 v[12:15], v[6:7], off
	v_add_co_u32 v4, s0, v50, v8
	v_lshlrev_b64 v[7:8], 4, v[16:17]
	v_mov_b32_e32 v6, v19
	v_add_co_ci_u32_e64 v5, s0, v51, v9, s0
	v_mad_u64_u32 v[16:17], null, s8, v21, 0
	s_delay_alu instid0(VALU_DEP_3) | instskip(SKIP_2) | instid1(VALU_DEP_1)
	v_mad_u64_u32 v[9:10], null, s9, v11, v[6:7]
	v_add_nc_u32_e32 v20, 0x264, v146
	v_add_co_u32 v6, s0, v50, v7
	v_add_co_ci_u32_e64 v7, s0, v51, v8, s0
	s_delay_alu instid0(VALU_DEP_4) | instskip(SKIP_2) | instid1(VALU_DEP_1)
	v_mov_b32_e32 v19, v9
	v_mov_b32_e32 v9, v17
	v_mad_u64_u32 v[10:11], null, s8, v20, 0
	v_mad_u64_u32 v[48:49], null, s9, v21, v[9:10]
	s_delay_alu instid0(VALU_DEP_2) | instskip(SKIP_1) | instid1(VALU_DEP_2)
	v_mov_b32_e32 v8, v11
	v_add_nc_u32_e32 v54, 0x330, v146
	v_mad_u64_u32 v[30:31], null, s9, v20, v[8:9]
	s_delay_alu instid0(VALU_DEP_4) | instskip(NEXT) | instid1(VALU_DEP_3)
	v_mov_b32_e32 v17, v48
	v_mad_u64_u32 v[8:9], null, s8, v54, 0
	s_clause 0x1
	global_load_b128 v[20:23], v[4:5], off
	global_load_b128 v[24:27], v[6:7], off
	v_lshlrev_b64 v[5:6], 4, v[18:19]
	v_dual_mov_b32 v4, v29 :: v_dual_mov_b32 v11, v30
	v_lshlrev_b64 v[16:17], 4, v[16:17]
	s_delay_alu instid0(VALU_DEP_2) | instskip(SKIP_4) | instid1(VALU_DEP_3)
	v_mad_u64_u32 v[18:19], null, s9, v53, v[4:5]
	v_mov_b32_e32 v4, v9
	v_add_co_u32 v5, s0, v50, v5
	v_lshlrev_b64 v[9:10], 4, v[10:11]
	v_add_co_ci_u32_e64 v6, s0, v51, v6, s0
	v_mad_u64_u32 v[30:31], null, s9, v54, v[4:5]
	v_mov_b32_e32 v29, v18
	s_delay_alu instid0(VALU_DEP_4) | instskip(NEXT) | instid1(VALU_DEP_1)
	v_add_co_u32 v18, s0, v50, v9
	v_add_co_ci_u32_e64 v19, s0, v51, v10, s0
	s_delay_alu instid0(VALU_DEP_3) | instskip(SKIP_2) | instid1(VALU_DEP_1)
	v_lshlrev_b64 v[10:11], 4, v[28:29]
	v_mov_b32_e32 v9, v30
	v_add_co_u32 v16, s0, v50, v16
	v_add_co_ci_u32_e64 v17, s0, v51, v17, s0
	s_delay_alu instid0(VALU_DEP_3) | instskip(SKIP_1) | instid1(VALU_DEP_1)
	v_lshlrev_b64 v[7:8], 4, v[8:9]
	v_add_co_u32 v9, s0, v50, v10
	v_add_co_ci_u32_e64 v10, s0, v51, v11, s0
	s_delay_alu instid0(VALU_DEP_3) | instskip(NEXT) | instid1(VALU_DEP_1)
	v_add_co_u32 v53, s0, v50, v7
	v_add_co_ci_u32_e64 v54, s0, v51, v8, s0
	s_clause 0x4
	global_load_b128 v[48:51], v[5:6], off
	global_load_b128 v[28:31], v[18:19], off
	;; [unrolled: 1-line block ×5, first 2 shown]
.LBB0_12:
	s_or_b32 exec_lo, exec_lo, s1
	s_waitcnt vmcnt(11)
	v_add_f64 v[53:54], v[32:33], v[0:1]
	s_waitcnt vmcnt(0)
	v_add_f64 v[55:56], v[32:33], v[4:5]
	s_mov_b32 s14, 0xe00740e9
	s_mov_b32 s6, 0x1ea71119
	;; [unrolled: 1-line block ×10, first 2 shown]
	v_add_f64 v[57:58], v[34:35], -v[6:7]
	v_add_f64 v[59:60], v[44:45], v[8:9]
	s_mov_b32 s2, 0xebaa3ed8
	s_mov_b32 s3, 0x3fbedb7d
	;; [unrolled: 1-line block ×21, first 2 shown]
	v_add_f64 v[74:75], v[16:17], v[40:41]
	s_mov_b32 s29, 0xbfe5384d
	v_add_f64 v[78:79], v[46:47], -v[10:11]
	v_add_f64 v[53:54], v[44:45], v[53:54]
	v_mul_f64 v[61:62], v[55:56], s[14:15]
	v_mul_f64 v[63:64], v[55:56], s[6:7]
	;; [unrolled: 1-line block ×6, first 2 shown]
	s_mov_b32 s28, s40
	s_mov_b32 s21, 0x3fefc445
	;; [unrolled: 1-line block ×4, first 2 shown]
	v_add_f64 v[102:103], v[28:29], v[36:37]
	v_mul_hi_u32 v71, 0xaaaaaaab, v52
	v_mul_f64 v[80:81], v[59:60], s[6:7]
	v_mul_f64 v[82:83], v[59:60], s[12:13]
	;; [unrolled: 1-line block ×6, first 2 shown]
	v_cmp_gt_u32_e64 s0, 17, v146
	v_lshrrev_b32_e32 v71, 1, v71
	s_delay_alu instid0(VALU_DEP_1)
	v_lshl_add_u32 v71, v71, 1, v71
	v_mul_f64 v[104:105], v[74:75], s[2:3]
	v_mul_f64 v[106:107], v[74:75], s[18:19]
	;; [unrolled: 1-line block ×3, first 2 shown]
	v_add_f64 v[53:54], v[40:41], v[53:54]
	v_fma_f64 v[90:91], v[57:58], s[26:27], v[61:62]
	v_fma_f64 v[61:62], v[57:58], s[44:45], v[61:62]
	;; [unrolled: 1-line block ×12, first 2 shown]
	v_add_f64 v[57:58], v[42:43], -v[18:19]
	v_mul_f64 v[111:112], v[74:75], s[14:15]
	v_mul_f64 v[113:114], v[74:75], s[6:7]
	;; [unrolled: 1-line block ×3, first 2 shown]
	v_fma_f64 v[115:116], v[78:79], s[24:25], v[80:81]
	v_fma_f64 v[80:81], v[78:79], s[34:35], v[80:81]
	;; [unrolled: 1-line block ×12, first 2 shown]
	v_mul_f64 v[127:128], v[102:103], s[12:13]
	v_mul_f64 v[131:132], v[102:103], s[14:15]
	;; [unrolled: 1-line block ×6, first 2 shown]
	v_add_f64 v[53:54], v[36:37], v[53:54]
	v_add_f64 v[78:79], v[90:91], v[0:1]
	v_add_f64 v[61:62], v[61:62], v[0:1]
	v_add_f64 v[90:91], v[92:93], v[0:1]
	v_add_f64 v[92:93], v[94:95], v[0:1]
	v_add_f64 v[94:95], v[96:97], v[0:1]
	v_add_f64 v[65:66], v[65:66], v[0:1]
	v_add_f64 v[96:97], v[98:99], v[0:1]
	v_add_f64 v[69:70], v[69:70], v[0:1]
	v_add_f64 v[67:68], v[67:68], v[0:1]
	v_add_f64 v[98:99], v[100:101], v[0:1]
	v_add_f64 v[63:64], v[63:64], v[0:1]
	v_add_f64 v[0:1], v[55:56], v[0:1]
	v_add_f64 v[55:56], v[38:39], -v[30:31]
	v_add_f64 v[100:101], v[12:13], v[48:49]
	v_fma_f64 v[137:138], v[57:58], s[20:21], v[104:105]
	v_fma_f64 v[104:105], v[57:58], s[38:39], v[104:105]
	;; [unrolled: 1-line block ×12, first 2 shown]
	v_add_f64 v[53:54], v[12:13], v[53:54]
	v_add_f64 v[74:75], v[115:116], v[78:79]
	;; [unrolled: 1-line block ×13, first 2 shown]
	v_add_f64 v[84:85], v[14:15], -v[50:51]
	v_add_f64 v[88:89], v[20:21], v[24:25]
	v_mul_f64 v[96:97], v[100:101], s[18:19]
	v_mul_f64 v[98:99], v[100:101], s[14:15]
	v_fma_f64 v[115:116], v[55:56], s[42:43], v[127:128]
	v_fma_f64 v[117:118], v[55:56], s[22:23], v[127:128]
	;; [unrolled: 1-line block ×6, first 2 shown]
	v_mul_f64 v[90:91], v[100:101], s[16:17]
	v_mul_f64 v[92:93], v[100:101], s[2:3]
	;; [unrolled: 1-line block ×4, first 2 shown]
	v_fma_f64 v[119:120], v[55:56], s[28:29], v[129:130]
	v_fma_f64 v[121:122], v[55:56], s[40:41], v[129:130]
	;; [unrolled: 1-line block ×6, first 2 shown]
	v_add_f64 v[53:54], v[20:21], v[53:54]
	v_add_f64 v[74:75], v[137:138], v[74:75]
	;; [unrolled: 1-line block ×13, first 2 shown]
	v_add_f64 v[69:70], v[22:23], -v[26:27]
	v_mul_f64 v[109:110], v[88:89], s[6:7]
	v_mul_f64 v[111:112], v[88:89], s[12:13]
	v_fma_f64 v[141:142], v[84:85], s[30:31], v[96:97]
	v_fma_f64 v[143:144], v[84:85], s[44:45], v[98:99]
	v_mul_f64 v[102:103], v[88:89], s[18:19]
	v_mul_f64 v[104:105], v[88:89], s[14:15]
	;; [unrolled: 1-line block ×4, first 2 shown]
	v_fma_f64 v[96:97], v[84:85], s[36:37], v[96:97]
	v_fma_f64 v[113:114], v[84:85], s[40:41], v[90:91]
	;; [unrolled: 1-line block ×10, first 2 shown]
	v_add_f64 v[53:54], v[24:25], v[53:54]
	v_add_f64 v[74:75], v[115:116], v[74:75]
	;; [unrolled: 1-line block ×13, first 2 shown]
	v_fma_f64 v[117:118], v[69:70], s[34:35], v[109:110]
	v_fma_f64 v[119:120], v[69:70], s[42:43], v[111:112]
	;; [unrolled: 1-line block ×12, first 2 shown]
	v_add_f64 v[53:54], v[48:49], v[53:54]
	v_add_f64 v[74:75], v[113:114], v[74:75]
	v_add_f64 v[61:62], v[90:91], v[61:62]
	v_add_f64 v[88:89], v[92:93], v[78:79]
	v_add_f64 v[80:81], v[141:142], v[80:81]
	v_add_f64 v[82:83], v[143:144], v[82:83]
	v_add_f64 v[65:66], v[96:97], v[65:66]
	v_add_f64 v[86:87], v[147:148], v[86:87]
	v_add_f64 v[55:56], v[84:85], v[55:56]
	v_add_f64 v[57:58], v[98:99], v[57:58]
	v_add_f64 v[59:60], v[94:95], v[59:60]
	v_add_f64 v[63:64], v[137:138], v[63:64]
	v_add_f64 v[0:1], v[139:140], v[0:1]
	v_lshlrev_b32_e32 v98, 3, v108
	v_add_f64 v[53:54], v[28:29], v[53:54]
	v_add_f64 v[67:68], v[67:68], v[74:75]
	;; [unrolled: 1-line block ×13, first 2 shown]
	v_sub_nc_u32_e32 v0, v52, v71
                                        ; implicit-def: $vgpr88_vgpr89
	s_delay_alu instid0(VALU_DEP_1) | instskip(NEXT) | instid1(VALU_DEP_1)
	v_mul_u32_u24_e32 v76, 0x374, v0
	v_lshl_add_u32 v1, v76, 3, 0
	v_lshlrev_b32_e32 v111, 3, v76
	s_delay_alu instid0(VALU_DEP_2) | instskip(SKIP_3) | instid1(VALU_DEP_4)
	v_mad_u32_u24 v0, 0x68, v146, v1
	v_lshl_add_u32 v110, v146, 3, v1
	v_lshl_add_u32 v74, v72, 3, v1
	;; [unrolled: 1-line block ×3, first 2 shown]
	v_mad_i32_i24 v109, 0xffffffa0, v146, v0
	s_delay_alu instid0(VALU_DEP_1) | instskip(SKIP_4) | instid1(VALU_DEP_4)
	v_add_nc_u32_e32 v1, 0x400, v109
	v_add_f64 v[53:54], v[16:17], v[53:54]
	v_add_nc_u32_e32 v95, 0x800, v109
	v_add_nc_u32_e32 v96, 0x1000, v109
	;; [unrolled: 1-line block ×3, first 2 shown]
	v_add_f64 v[53:54], v[8:9], v[53:54]
	s_delay_alu instid0(VALU_DEP_1)
	v_add_f64 v[53:54], v[4:5], v[53:54]
	ds_store_2addr_b64 v0, v[80:81], v[82:83] offset0:4 offset1:5
	ds_store_2addr_b64 v0, v[84:85], v[55:56] offset0:6 offset1:7
	;; [unrolled: 1-line block ×4, first 2 shown]
	ds_store_b64 v0, v[78:79] offset:96
	ds_store_2addr_b64 v0, v[53:54], v[67:68] offset1:1
	ds_store_2addr_b64 v0, v[63:64], v[69:70] offset0:2 offset1:3
	s_waitcnt lgkmcnt(0)
	s_barrier
	buffer_gl0_inv
	ds_load_b64 v[80:81], v110
	ds_load_2addr_b64 v[64:67], v1 offset0:93 offset1:161
	ds_load_2addr_b64 v[52:55], v95 offset0:101 offset1:186
	ds_load_2addr_b64 v[68:71], v96 offset0:151 offset1:219
	ds_load_b64 v[82:83], v75
	ds_load_b64 v[84:85], v74
	ds_load_b64 v[86:87], v109 offset:6392
	ds_load_2addr_b64 v[56:59], v94 offset0:126 offset1:194
                                        ; implicit-def: $vgpr60_vgpr61
	s_and_saveexec_b32 s1, s0
	s_cbranch_execz .LBB0_14
; %bb.13:
	v_add_nc_u32_e32 v60, 0xd00, v109
	v_add3_u32 v76, 0, v98, v111
	ds_load_2addr_b64 v[60:63], v60 offset0:9 offset1:230
	ds_load_b64 v[78:79], v76
	ds_load_b64 v[88:89], v109 offset:6936
.LBB0_14:
	s_or_b32 exec_lo, exec_lo, s1
	v_add_f64 v[90:91], v[34:35], v[2:3]
	v_add_f64 v[4:5], v[32:33], -v[4:5]
	v_add_f64 v[8:9], v[44:45], -v[8:9]
	v_add_f64 v[34:35], v[34:35], v[6:7]
	v_add_f64 v[16:17], v[40:41], -v[16:17]
	v_add_f64 v[40:41], v[46:47], v[10:11]
	v_add_f64 v[28:29], v[36:37], -v[28:29]
	v_add_f64 v[12:13], v[12:13], -v[48:49]
	;; [unrolled: 1-line block ×3, first 2 shown]
	s_waitcnt lgkmcnt(0)
	s_barrier
	buffer_gl0_inv
	v_add_f64 v[90:91], v[46:47], v[90:91]
	v_mul_f64 v[44:45], v[4:5], s[44:45]
	v_mul_f64 v[92:93], v[4:5], s[22:23]
	;; [unrolled: 1-line block ×18, first 2 shown]
	v_add_f64 v[90:91], v[42:43], v[90:91]
	v_fma_f64 v[116:117], v[34:35], s[14:15], v[44:45]
	v_fma_f64 v[44:45], v[34:35], s[14:15], -v[44:45]
	v_fma_f64 v[120:121], v[34:35], s[12:13], v[92:93]
	v_fma_f64 v[122:123], v[34:35], s[16:17], v[99:100]
	v_fma_f64 v[92:93], v[34:35], s[12:13], -v[92:93]
	v_fma_f64 v[124:125], v[34:35], s[18:19], v[101:102]
	v_fma_f64 v[101:102], v[34:35], s[18:19], -v[101:102]
	v_fma_f64 v[99:100], v[34:35], s[16:17], -v[99:100]
	v_fma_f64 v[134:135], v[40:41], s[6:7], v[46:47]
	v_fma_f64 v[46:47], v[40:41], s[6:7], -v[46:47]
	v_fma_f64 v[136:137], v[40:41], s[12:13], v[103:104]
	v_fma_f64 v[103:104], v[40:41], s[12:13], -v[103:104]
	v_fma_f64 v[138:139], v[40:41], s[18:19], v[105:106]
	v_fma_f64 v[105:106], v[40:41], s[18:19], -v[105:106]
	v_fma_f64 v[140:141], v[40:41], s[16:17], v[112:113]
	v_fma_f64 v[112:113], v[40:41], s[16:17], -v[112:113]
	v_fma_f64 v[142:143], v[40:41], s[2:3], v[114:115]
	v_fma_f64 v[114:115], v[40:41], s[2:3], -v[114:115]
	v_fma_f64 v[144:145], v[40:41], s[14:15], v[8:9]
	v_fma_f64 v[8:9], v[40:41], s[14:15], -v[8:9]
	v_add_f64 v[32:33], v[38:39], v[90:91]
	v_mul_f64 v[90:91], v[4:5], s[34:35]
	v_mul_f64 v[4:5], v[4:5], s[38:39]
	v_add_f64 v[40:41], v[116:117], v[2:3]
	v_add_f64 v[44:45], v[44:45], v[2:3]
	;; [unrolled: 1-line block ×6, first 2 shown]
	v_fma_f64 v[118:119], v[34:35], s[6:7], -v[90:91]
	v_fma_f64 v[126:127], v[34:35], s[2:3], -v[4:5]
	v_fma_f64 v[90:91], v[34:35], s[6:7], v[90:91]
	v_fma_f64 v[4:5], v[34:35], s[2:3], v[4:5]
	v_add_f64 v[34:35], v[18:19], v[42:43]
	v_mul_f64 v[42:43], v[16:17], s[30:31]
	v_mul_f64 v[16:17], v[16:17], s[28:29]
	v_add_f64 v[92:93], v[112:113], v[92:93]
	v_add_f64 v[8:9], v[8:9], v[101:102]
	;; [unrolled: 1-line block ×4, first 2 shown]
	v_mul_f64 v[114:115], v[12:13], s[36:37]
	v_add_f64 v[32:33], v[22:23], v[32:33]
	v_add_f64 v[116:117], v[118:119], v[2:3]
	;; [unrolled: 1-line block ×9, first 2 shown]
	v_mul_f64 v[38:39], v[28:29], s[22:23]
	v_mul_f64 v[126:127], v[28:29], s[26:27]
	;; [unrolled: 1-line block ×3, first 2 shown]
	v_fma_f64 v[151:152], v[34:35], s[2:3], v[36:37]
	v_fma_f64 v[36:37], v[34:35], s[2:3], -v[36:37]
	v_fma_f64 v[153:154], v[34:35], s[18:19], v[42:43]
	v_fma_f64 v[42:43], v[34:35], s[18:19], -v[42:43]
	v_fma_f64 v[155:156], v[34:35], s[12:13], v[128:129]
	v_fma_f64 v[128:129], v[34:35], s[12:13], -v[128:129]
	v_fma_f64 v[157:158], v[34:35], s[14:15], v[130:131]
	v_fma_f64 v[130:131], v[34:35], s[14:15], -v[130:131]
	v_fma_f64 v[159:160], v[34:35], s[6:7], v[132:133]
	v_fma_f64 v[132:133], v[34:35], s[6:7], -v[132:133]
	v_fma_f64 v[161:162], v[34:35], s[16:17], v[16:17]
	v_fma_f64 v[16:17], v[34:35], s[16:17], -v[16:17]
	v_add_f64 v[34:35], v[134:135], v[40:41]
	v_add_f64 v[40:41], v[46:47], v[44:45]
	;; [unrolled: 1-line block ×11, first 2 shown]
	v_mul_f64 v[105:106], v[12:13], s[34:35]
	v_mul_f64 v[116:117], v[12:13], s[26:27]
	v_fma_f64 v[118:119], v[4:5], s[12:13], v[38:39]
	v_fma_f64 v[38:39], v[4:5], s[12:13], -v[38:39]
	v_fma_f64 v[120:121], v[4:5], s[16:17], v[48:49]
	v_fma_f64 v[48:49], v[4:5], s[16:17], -v[48:49]
	;; [unrolled: 2-line block ×6, first 2 shown]
	v_mul_f64 v[26:27], v[20:21], s[30:31]
	v_add_f64 v[8:9], v[16:17], v[8:9]
	v_add_f64 v[28:29], v[151:152], v[34:35]
	;; [unrolled: 1-line block ×4, first 2 shown]
	v_mul_f64 v[99:100], v[20:21], s[28:29]
	v_fma_f64 v[132:133], v[14:15], s[18:19], v[114:115]
	v_fma_f64 v[114:115], v[14:15], s[18:19], -v[114:115]
	v_add_f64 v[32:33], v[50:51], v[32:33]
	v_mul_f64 v[50:51], v[12:13], s[20:21]
	v_mul_f64 v[12:13], v[12:13], s[22:23]
	v_add_f64 v[36:37], v[42:43], v[44:45]
	v_add_f64 v[40:41], v[157:158], v[46:47]
	;; [unrolled: 1-line block ×8, first 2 shown]
	v_mul_f64 v[101:102], v[20:21], s[24:25]
	v_mul_f64 v[103:104], v[20:21], s[22:23]
	v_fma_f64 v[112:113], v[14:15], s[16:17], v[24:25]
	v_fma_f64 v[24:25], v[14:15], s[16:17], -v[24:25]
	v_fma_f64 v[130:131], v[14:15], s[6:7], v[105:106]
	v_fma_f64 v[105:106], v[14:15], s[6:7], -v[105:106]
	;; [unrolled: 2-line block ×3, first 2 shown]
	v_add_f64 v[4:5], v[4:5], v[8:9]
	v_add_f64 v[8:9], v[138:139], v[16:17]
	;; [unrolled: 1-line block ×3, first 2 shown]
	v_mul_f64 v[32:33], v[20:21], s[26:27]
	v_mul_f64 v[20:21], v[20:21], s[20:21]
	v_fma_f64 v[128:129], v[14:15], s[2:3], v[50:51]
	v_fma_f64 v[50:51], v[14:15], s[2:3], -v[50:51]
	v_fma_f64 v[144:145], v[14:15], s[12:13], v[12:13]
	v_fma_f64 v[12:13], v[14:15], s[12:13], -v[12:13]
	v_add_f64 v[14:15], v[118:119], v[28:29]
	v_add_f64 v[28:29], v[38:39], v[34:35]
	;; [unrolled: 1-line block ×10, first 2 shown]
	v_fma_f64 v[48:49], v[22:23], s[16:17], v[99:100]
	v_fma_f64 v[92:93], v[22:23], s[16:17], -v[99:100]
	v_fma_f64 v[99:100], v[22:23], s[6:7], v[101:102]
	v_fma_f64 v[101:102], v[22:23], s[6:7], -v[101:102]
	v_fma_f64 v[118:119], v[22:23], s[12:13], v[103:104]
	v_fma_f64 v[103:104], v[22:23], s[12:13], -v[103:104]
	v_add_f64 v[8:9], v[116:117], v[8:9]
	v_add_f64 v[18:19], v[18:19], v[30:31]
	v_fma_f64 v[30:31], v[22:23], s[18:19], v[26:27]
	v_fma_f64 v[26:27], v[22:23], s[18:19], -v[26:27]
	v_fma_f64 v[46:47], v[22:23], s[14:15], v[32:33]
	v_fma_f64 v[32:33], v[22:23], s[14:15], -v[32:33]
	;; [unrolled: 2-line block ×3, first 2 shown]
	v_add_f64 v[4:5], v[12:13], v[4:5]
	v_add_f64 v[22:23], v[24:25], v[28:29]
	;; [unrolled: 1-line block ×24, first 2 shown]
                                        ; implicit-def: $vgpr36_vgpr37
	v_add_f64 v[6:7], v[6:7], v[10:11]
	ds_store_2addr_b64 v0, v[22:23], v[26:27] offset0:4 offset1:5
	ds_store_2addr_b64 v0, v[28:29], v[4:5] offset0:6 offset1:7
	;; [unrolled: 1-line block ×4, first 2 shown]
	ds_store_b64 v0, v[90:91] offset:96
	ds_store_2addr_b64 v0, v[6:7], v[14:15] offset1:1
	ds_store_2addr_b64 v0, v[16:17], v[2:3] offset0:2 offset1:3
	s_waitcnt lgkmcnt(0)
	s_barrier
	buffer_gl0_inv
	ds_load_b64 v[92:93], v110
	ds_load_2addr_b64 v[0:3], v1 offset0:93 offset1:161
	ds_load_2addr_b64 v[6:9], v95 offset0:101 offset1:186
	;; [unrolled: 1-line block ×4, first 2 shown]
	ds_load_b64 v[94:95], v75
	ds_load_b64 v[96:97], v74
	ds_load_b64 v[4:5], v109 offset:6392
                                        ; implicit-def: $vgpr14_vgpr15
	s_and_saveexec_b32 s1, s0
	s_cbranch_execz .LBB0_16
; %bb.15:
	v_add_nc_u32_e32 v14, 0xd00, v109
	v_add3_u32 v15, 0, v98, v111
	ds_load_2addr_b64 v[36:39], v14 offset0:9 offset1:230
	ds_load_b64 v[90:91], v15
	ds_load_b64 v[14:15], v109 offset:6936
.LBB0_16:
	s_or_b32 exec_lo, exec_lo, s1
	v_and_b32_e32 v16, 0xff, v146
	v_and_b32_e32 v17, 0xff, v72
	;; [unrolled: 1-line block ×4, first 2 shown]
	s_delay_alu instid0(VALU_DEP_4) | instskip(NEXT) | instid1(VALU_DEP_4)
	v_mul_lo_u16 v16, 0x4f, v16
	v_mul_lo_u16 v17, 0x4f, v17
	s_delay_alu instid0(VALU_DEP_4) | instskip(NEXT) | instid1(VALU_DEP_3)
	v_mul_lo_u16 v18, 0x4f, v18
	v_lshrrev_b16 v76, 10, v16
	v_mul_u32_u24_e32 v16, 0x4ec5, v19
	s_delay_alu instid0(VALU_DEP_4) | instskip(NEXT) | instid1(VALU_DEP_4)
	v_lshrrev_b16 v77, 10, v17
	v_lshrrev_b16 v142, 10, v18
	s_delay_alu instid0(VALU_DEP_4) | instskip(NEXT) | instid1(VALU_DEP_4)
	v_mul_lo_u16 v17, v76, 13
	v_lshrrev_b32_e32 v16, 18, v16
	s_delay_alu instid0(VALU_DEP_4) | instskip(NEXT) | instid1(VALU_DEP_4)
	v_mul_lo_u16 v18, v77, 13
	v_mul_lo_u16 v19, v142, 13
	s_delay_alu instid0(VALU_DEP_4) | instskip(NEXT) | instid1(VALU_DEP_4)
	v_sub_nc_u16 v17, v146, v17
	v_mul_lo_u16 v16, v16, 13
	s_delay_alu instid0(VALU_DEP_4) | instskip(NEXT) | instid1(VALU_DEP_4)
	v_sub_nc_u16 v18, v72, v18
	v_sub_nc_u16 v19, v73, v19
	s_delay_alu instid0(VALU_DEP_4) | instskip(NEXT) | instid1(VALU_DEP_4)
	v_and_b32_e32 v143, 0xff, v17
	v_sub_nc_u16 v16, v108, v16
	s_delay_alu instid0(VALU_DEP_4) | instskip(NEXT) | instid1(VALU_DEP_4)
	v_and_b32_e32 v144, 0xff, v18
	v_and_b32_e32 v145, 0xff, v19
	s_delay_alu instid0(VALU_DEP_4) | instskip(NEXT) | instid1(VALU_DEP_4)
	v_mul_u32_u24_e32 v17, 3, v143
	v_and_b32_e32 v147, 0xffff, v16
	s_delay_alu instid0(VALU_DEP_4) | instskip(NEXT) | instid1(VALU_DEP_4)
	v_mul_u32_u24_e32 v16, 3, v144
	v_mul_u32_u24_e32 v18, 3, v145
	s_delay_alu instid0(VALU_DEP_4) | instskip(NEXT) | instid1(VALU_DEP_4)
	v_lshlrev_b32_e32 v20, 4, v17
	v_mul_u32_u24_e32 v21, 3, v147
	s_delay_alu instid0(VALU_DEP_4) | instskip(NEXT) | instid1(VALU_DEP_4)
	v_lshlrev_b32_e32 v28, 4, v16
	v_lshlrev_b32_e32 v72, 4, v18
	s_clause 0x1
	global_load_b128 v[40:43], v20, s[4:5] offset:16
	global_load_b128 v[16:19], v20, s[4:5]
	v_lshlrev_b32_e32 v106, 4, v21
	s_clause 0x9
	global_load_b128 v[20:23], v20, s[4:5] offset:32
	global_load_b128 v[24:27], v28, s[4:5]
	global_load_b128 v[44:47], v28, s[4:5] offset:16
	global_load_b128 v[28:31], v28, s[4:5] offset:32
	global_load_b128 v[98:101], v72, s[4:5]
	global_load_b128 v[48:51], v72, s[4:5] offset:16
	;; [unrolled: 3-line block ×3, first 2 shown]
	global_load_b128 v[116:119], v106, s[4:5] offset:32
	s_waitcnt vmcnt(0) lgkmcnt(0)
	s_barrier
	buffer_gl0_inv
	v_mul_f64 v[122:123], v[10:11], v[22:23]
	v_mul_f64 v[124:125], v[2:3], v[26:27]
	;; [unrolled: 1-line block ×20, first 2 shown]
	v_fma_f64 v[66:67], v[66:67], v[24:25], -v[124:125]
	v_fma_f64 v[124:125], v[70:71], v[28:29], -v[128:129]
	;; [unrolled: 1-line block ×12, first 2 shown]
	v_fma_f64 v[52:53], v[0:1], v[16:17], v[18:19]
	v_fma_f64 v[0:1], v[10:11], v[20:21], v[22:23]
	;; [unrolled: 1-line block ×8, first 2 shown]
	v_add_f64 v[86:87], v[66:67], -v[124:125]
	v_add_f64 v[22:23], v[82:83], -v[128:129]
	;; [unrolled: 1-line block ×12, first 2 shown]
	v_fma_f64 v[6:7], v[66:67], 2.0, -v[86:87]
	v_fma_f64 v[2:3], v[80:81], 2.0, -v[12:13]
	v_fma_f64 v[0:1], v[64:65], 2.0, -v[36:37]
	v_fma_f64 v[4:5], v[84:85], 2.0, -v[18:19]
	v_fma_f64 v[80:81], v[82:83], 2.0, -v[22:23]
	v_fma_f64 v[14:15], v[126:127], 2.0, -v[88:89]
	v_fma_f64 v[78:79], v[78:79], 2.0, -v[112:113]
	v_fma_f64 v[24:25], v[60:61], 2.0, -v[98:99]
	v_and_b32_e32 v60, 0xffff, v142
	v_add_f64 v[28:29], v[12:13], -v[104:105]
	v_lshlrev_b32_e32 v61, 3, v143
	v_add_f64 v[16:17], v[18:19], -v[106:107]
	s_delay_alu instid0(VALU_DEP_4)
	v_mad_u32_u24 v60, 0x1a0, v60, 0
	v_add_f64 v[20:21], v[112:113], -v[100:101]
	v_add_f64 v[66:67], v[2:3], -v[0:1]
	;; [unrolled: 1-line block ×6, first 2 shown]
	v_fma_f64 v[64:65], v[12:13], 2.0, -v[28:29]
	v_fma_f64 v[24:25], v[18:19], 2.0, -v[16:17]
	;; [unrolled: 1-line block ×7, first 2 shown]
	v_and_b32_e32 v22, 0xffff, v76
	v_and_b32_e32 v23, 0xffff, v77
	v_fma_f64 v[2:3], v[78:79], 2.0, -v[14:15]
	v_lshlrev_b32_e32 v76, 3, v144
	v_lshlrev_b32_e32 v77, 3, v145
	v_mad_u32_u24 v22, 0x1a0, v22, 0
	v_mad_u32_u24 v23, 0x1a0, v23, 0
	v_and_b32_e32 v79, 0xff, v108
	v_lshlrev_b32_e32 v78, 3, v147
	v_add3_u32 v80, v60, v77, v111
	v_add3_u32 v82, v22, v61, v111
	;; [unrolled: 1-line block ×3, first 2 shown]
	ds_store_2addr_b64 v82, v[66:67], v[28:29] offset0:26 offset1:39
	ds_store_2addr_b64 v82, v[199:200], v[64:65] offset1:13
	ds_store_2addr_b64 v81, v[30:31], v[24:25] offset1:13
	ds_store_2addr_b64 v81, v[26:27], v[16:17] offset0:26 offset1:39
	ds_store_2addr_b64 v80, v[18:19], v[4:5] offset1:13
	ds_store_2addr_b64 v80, v[6:7], v[0:1] offset0:26 offset1:39
	s_and_saveexec_b32 s1, s0
	s_cbranch_execz .LBB0_18
; %bb.17:
	v_mul_lo_u16 v22, 0x4f, v79
	s_delay_alu instid0(VALU_DEP_1) | instskip(NEXT) | instid1(VALU_DEP_1)
	v_lshrrev_b16 v22, 10, v22
	v_and_b32_e32 v22, 0xffff, v22
	s_delay_alu instid0(VALU_DEP_1) | instskip(NEXT) | instid1(VALU_DEP_1)
	v_mad_u32_u24 v22, 0x1a0, v22, 0
	v_add3_u32 v22, v22, v78, v111
	ds_store_2addr_b64 v22, v[2:3], v[12:13] offset1:13
	ds_store_2addr_b64 v22, v[14:15], v[20:21] offset0:26 offset1:39
.LBB0_18:
	s_or_b32 exec_lo, exec_lo, s1
	v_cmp_gt_u32_e64 s1, 52, v146
	s_waitcnt lgkmcnt(0)
	s_barrier
	buffer_gl0_inv
	s_and_saveexec_b32 s2, s1
	s_cbranch_execz .LBB0_20
; %bb.19:
	v_add_nc_u32_e32 v0, 0x800, v109
	v_add_nc_u32_e32 v1, 0xc00, v109
	;; [unrolled: 1-line block ×4, first 2 shown]
	ds_load_b64 v[199:200], v110
	ds_load_2addr_b64 v[64:67], v109 offset0:52 offset1:104
	ds_load_2addr_b64 v[28:31], v109 offset0:156 offset1:208
	ds_load_2addr_b64 v[24:27], v0 offset0:4 offset1:56
	ds_load_2addr_b64 v[16:19], v0 offset0:108 offset1:160
	ds_load_2addr_b64 v[4:7], v1 offset0:84 offset1:136
	ds_load_2addr_b64 v[0:3], v12 offset0:60 offset1:112
	ds_load_2addr_b64 v[12:15], v12 offset0:164 offset1:216
	ds_load_2addr_b64 v[20:23], v20 offset0:12 offset1:64
.LBB0_20:
	s_or_b32 exec_lo, exec_lo, s2
	v_mul_f64 v[42:43], v[54:55], v[42:43]
	v_mul_f64 v[46:47], v[56:57], v[46:47]
	;; [unrolled: 1-line block ×4, first 2 shown]
	v_fma_f64 v[10:11], v[10:11], 2.0, -v[100:101]
	s_waitcnt lgkmcnt(0)
	s_barrier
	buffer_gl0_inv
	v_fma_f64 v[8:9], v[8:9], v[40:41], v[42:43]
	v_fma_f64 v[32:33], v[32:33], v[44:45], v[46:47]
	;; [unrolled: 1-line block ×4, first 2 shown]
	s_delay_alu instid0(VALU_DEP_4) | instskip(NEXT) | instid1(VALU_DEP_4)
	v_add_f64 v[42:43], v[92:93], -v[8:9]
	v_add_f64 v[32:33], v[96:97], -v[32:33]
	s_delay_alu instid0(VALU_DEP_4) | instskip(NEXT) | instid1(VALU_DEP_4)
	v_add_f64 v[46:47], v[94:95], -v[34:35]
	v_add_f64 v[72:73], v[90:91], -v[38:39]
	v_fma_f64 v[8:9], v[52:53], 2.0, -v[104:105]
	v_fma_f64 v[34:35], v[70:71], 2.0, -v[106:107]
	;; [unrolled: 1-line block ×7, first 2 shown]
	v_add_f64 v[52:53], v[42:43], v[36:37]
	v_add_f64 v[40:41], v[32:33], v[86:87]
	;; [unrolled: 1-line block ×3, first 2 shown]
	v_add_f64 v[58:59], v[54:55], -v[8:9]
	v_add_f64 v[50:51], v[70:71], -v[34:35]
	v_add_f64 v[8:9], v[46:47], v[88:89]
	v_add_f64 v[34:35], v[68:69], -v[38:39]
	v_add_f64 v[38:39], v[74:75], -v[10:11]
	v_fma_f64 v[56:57], v[42:43], 2.0, -v[52:53]
	v_fma_f64 v[48:49], v[32:33], 2.0, -v[40:41]
	;; [unrolled: 1-line block ×8, first 2 shown]
	ds_store_2addr_b64 v82, v[58:59], v[52:53] offset0:26 offset1:39
	ds_store_2addr_b64 v82, v[62:63], v[56:57] offset1:13
	ds_store_2addr_b64 v81, v[54:55], v[48:49] offset1:13
	ds_store_2addr_b64 v81, v[50:51], v[40:41] offset0:26 offset1:39
	ds_store_2addr_b64 v80, v[42:43], v[32:33] offset1:13
	ds_store_2addr_b64 v80, v[34:35], v[8:9] offset0:26 offset1:39
	s_and_saveexec_b32 s2, s0
	s_cbranch_execz .LBB0_22
; %bb.21:
	v_mul_lo_u16 v46, 0x4f, v79
	s_delay_alu instid0(VALU_DEP_1) | instskip(NEXT) | instid1(VALU_DEP_1)
	v_lshrrev_b16 v46, 10, v46
	v_and_b32_e32 v46, 0xffff, v46
	s_delay_alu instid0(VALU_DEP_1) | instskip(NEXT) | instid1(VALU_DEP_1)
	v_mad_u32_u24 v46, 0x1a0, v46, 0
	v_add3_u32 v46, v46, v78, v111
	ds_store_2addr_b64 v46, v[10:11], v[36:37] offset1:13
	ds_store_2addr_b64 v46, v[38:39], v[44:45] offset0:26 offset1:39
.LBB0_22:
	s_or_b32 exec_lo, exec_lo, s2
	s_waitcnt lgkmcnt(0)
	s_barrier
	buffer_gl0_inv
	s_and_saveexec_b32 s0, s1
	s_cbranch_execnz .LBB0_25
; %bb.23:
	s_or_b32 exec_lo, exec_lo, s0
	s_and_b32 s0, vcc_lo, s1
	s_delay_alu instid0(SALU_CYCLE_1)
	s_and_saveexec_b32 s1, s0
	s_cbranch_execnz .LBB0_26
.LBB0_24:
	s_endpgm
.LBB0_25:
	v_add_nc_u32_e32 v8, 0x800, v109
	v_add_nc_u32_e32 v9, 0xc00, v109
	;; [unrolled: 1-line block ×4, first 2 shown]
	ds_load_b64 v[62:63], v110
	ds_load_2addr_b64 v[56:59], v109 offset0:52 offset1:104
	ds_load_2addr_b64 v[52:55], v109 offset0:156 offset1:208
	;; [unrolled: 1-line block ×8, first 2 shown]
	s_or_b32 exec_lo, exec_lo, s0
	s_and_b32 s0, vcc_lo, s1
	s_delay_alu instid0(SALU_CYCLE_1)
	s_and_saveexec_b32 s1, s0
	s_cbranch_execz .LBB0_24
.LBB0_26:
	v_dual_mov_b32 v69, 0 :: v_dual_lshlrev_b32 v68, 4, v146
	s_mov_b32 s0, 0x370991
	s_mov_b32 s1, 0x3fedd6d0
	;; [unrolled: 1-line block ×4, first 2 shown]
	v_lshlrev_b64 v[68:69], 4, v[68:69]
	s_mov_b32 s6, 0x2a9d6da3
	s_mov_b32 s7, 0xbfe58eea
	;; [unrolled: 1-line block ×5, first 2 shown]
	v_add_co_u32 v72, vcc_lo, s4, v68
	v_add_co_ci_u32_e32 v73, vcc_lo, s5, v69, vcc_lo
	v_add_co_u32 v147, vcc_lo, s10, v163
	s_clause 0x1
	global_load_b128 v[78:81], v[72:73], off offset:624
	global_load_b128 v[82:85], v[72:73], off offset:640
	v_add_co_ci_u32_e32 v148, vcc_lo, s11, v164, vcc_lo
	s_mov_b32 s4, 0x5d8e7cdc
	s_mov_b32 s5, 0xbfd71e95
	;; [unrolled: 1-line block ×39, first 2 shown]
	v_add_nc_u32_e32 v255, 0x16c, v146
	s_waitcnt vmcnt(1) lgkmcnt(7)
	v_mul_f64 v[68:69], v[56:57], v[78:79]
	v_mul_f64 v[56:57], v[56:57], v[80:81]
	s_delay_alu instid0(VALU_DEP_2) | instskip(NEXT) | instid1(VALU_DEP_2)
	v_fma_f64 v[68:69], v[64:65], v[80:81], v[68:69]
	v_fma_f64 v[64:65], v[64:65], v[78:79], -v[56:57]
	s_waitcnt vmcnt(0)
	v_mul_f64 v[56:57], v[58:59], v[82:83]
	v_mul_f64 v[58:59], v[58:59], v[84:85]
	s_delay_alu instid0(VALU_DEP_2) | instskip(NEXT) | instid1(VALU_DEP_2)
	v_fma_f64 v[70:71], v[66:67], v[84:85], v[56:57]
	v_fma_f64 v[66:67], v[66:67], v[82:83], -v[58:59]
	s_clause 0x1
	global_load_b128 v[56:59], v[72:73], off offset:656
	global_load_b128 v[78:81], v[72:73], off offset:672
	s_waitcnt vmcnt(1) lgkmcnt(6)
	v_mul_f64 v[74:75], v[52:53], v[56:57]
	v_mul_f64 v[52:53], v[52:53], v[58:59]
	s_delay_alu instid0(VALU_DEP_2) | instskip(NEXT) | instid1(VALU_DEP_2)
	v_fma_f64 v[74:75], v[28:29], v[58:59], v[74:75]
	v_fma_f64 v[28:29], v[28:29], v[56:57], -v[52:53]
	s_waitcnt vmcnt(0)
	v_mul_f64 v[52:53], v[54:55], v[78:79]
	v_mul_f64 v[54:55], v[54:55], v[80:81]
	s_delay_alu instid0(VALU_DEP_2) | instskip(NEXT) | instid1(VALU_DEP_2)
	v_fma_f64 v[52:53], v[30:31], v[80:81], v[52:53]
	v_fma_f64 v[30:31], v[30:31], v[78:79], -v[54:55]
	s_clause 0x1
	global_load_b128 v[56:59], v[72:73], off offset:688
	global_load_b128 v[78:81], v[72:73], off offset:704
	;; [unrolled: 15-line block ×3, first 2 shown]
	s_waitcnt vmcnt(1) lgkmcnt(0)
	v_mul_f64 v[50:51], v[46:47], v[56:57]
	v_mul_f64 v[46:47], v[46:47], v[58:59]
	s_delay_alu instid0(VALU_DEP_2) | instskip(NEXT) | instid1(VALU_DEP_2)
	v_fma_f64 v[50:51], v[22:23], v[58:59], v[50:51]
	v_fma_f64 v[22:23], v[22:23], v[56:57], -v[46:47]
	s_waitcnt vmcnt(0)
	v_mul_f64 v[46:47], v[44:45], v[78:79]
	v_mul_f64 v[56:57], v[44:45], v[80:81]
	s_delay_alu instid0(VALU_DEP_4) | instskip(SKIP_1) | instid1(VALU_DEP_4)
	v_add_f64 v[153:154], v[68:69], v[50:51]
	v_add_f64 v[155:156], v[68:69], -v[50:51]
	v_fma_f64 v[44:45], v[20:21], v[80:81], v[46:47]
	s_delay_alu instid0(VALU_DEP_4)
	v_fma_f64 v[46:47], v[20:21], v[78:79], -v[56:57]
	s_clause 0x1
	global_load_b128 v[56:59], v[72:73], off offset:720
	global_load_b128 v[78:81], v[72:73], off offset:736
	v_mul_f64 v[96:97], v[153:154], s[2:3]
	v_mul_f64 v[94:95], v[155:156], s[6:7]
	v_add_f64 v[157:158], v[70:71], v[44:45]
	v_add_f64 v[159:160], v[70:71], -v[44:45]
	v_mul_f64 v[185:186], v[153:154], s[12:13]
	v_mul_f64 v[189:190], v[155:156], s[46:47]
	;; [unrolled: 1-line block ×12, first 2 shown]
	s_waitcnt vmcnt(1)
	v_mul_f64 v[20:21], v[40:41], v[56:57]
	v_mul_f64 v[40:41], v[40:41], v[58:59]
	s_delay_alu instid0(VALU_DEP_2) | instskip(NEXT) | instid1(VALU_DEP_2)
	v_fma_f64 v[20:21], v[16:17], v[58:59], v[20:21]
	v_fma_f64 v[16:17], v[16:17], v[56:57], -v[40:41]
	s_waitcnt vmcnt(0)
	v_mul_f64 v[40:41], v[42:43], v[78:79]
	v_mul_f64 v[42:43], v[42:43], v[80:81]
	s_delay_alu instid0(VALU_DEP_2) | instskip(NEXT) | instid1(VALU_DEP_2)
	v_fma_f64 v[40:41], v[18:19], v[80:81], v[40:41]
	v_fma_f64 v[18:19], v[18:19], v[78:79], -v[42:43]
	s_clause 0x1
	global_load_b128 v[56:59], v[72:73], off offset:832
	global_load_b128 v[78:81], v[72:73], off offset:816
	s_waitcnt vmcnt(1)
	v_mul_f64 v[42:43], v[38:39], v[56:57]
	v_mul_f64 v[38:39], v[38:39], v[58:59]
	s_delay_alu instid0(VALU_DEP_2) | instskip(NEXT) | instid1(VALU_DEP_2)
	v_fma_f64 v[42:43], v[14:15], v[58:59], v[42:43]
	v_fma_f64 v[14:15], v[14:15], v[56:57], -v[38:39]
	s_waitcnt vmcnt(0)
	v_mul_f64 v[38:39], v[36:37], v[78:79]
	v_mul_f64 v[56:57], v[36:37], v[80:81]
	s_delay_alu instid0(VALU_DEP_4) | instskip(SKIP_1) | instid1(VALU_DEP_4)
	v_add_f64 v[161:162], v[74:75], v[42:43]
	v_add_f64 v[163:164], v[74:75], -v[42:43]
	v_fma_f64 v[36:37], v[12:13], v[80:81], v[38:39]
	s_delay_alu instid0(VALU_DEP_4)
	v_fma_f64 v[38:39], v[12:13], v[78:79], -v[56:57]
	s_clause 0x1
	global_load_b128 v[56:59], v[72:73], off offset:752
	global_load_b128 v[78:81], v[72:73], off offset:768
	v_mul_f64 v[108:109], v[161:162], s[20:21]
	v_mul_f64 v[90:91], v[163:164], s[28:29]
	v_add_f64 v[165:166], v[52:53], v[36:37]
	v_add_f64 v[167:168], v[52:53], -v[36:37]
	v_mul_f64 v[193:194], v[161:162], s[24:25]
	v_mul_f64 v[195:196], v[163:164], s[36:37]
	;; [unrolled: 1-line block ×8, first 2 shown]
	s_waitcnt vmcnt(1)
	v_mul_f64 v[12:13], v[32:33], v[56:57]
	v_mul_f64 v[32:33], v[32:33], v[58:59]
	s_delay_alu instid0(VALU_DEP_2) | instskip(NEXT) | instid1(VALU_DEP_2)
	v_fma_f64 v[12:13], v[4:5], v[58:59], v[12:13]
	v_fma_f64 v[4:5], v[4:5], v[56:57], -v[32:33]
	s_waitcnt vmcnt(0)
	v_mul_f64 v[32:33], v[34:35], v[78:79]
	v_mul_f64 v[34:35], v[34:35], v[80:81]
	s_delay_alu instid0(VALU_DEP_4) | instskip(SKIP_1) | instid1(VALU_DEP_4)
	v_add_f64 v[181:182], v[40:41], v[12:13]
	v_add_f64 v[183:184], v[40:41], -v[12:13]
	v_fma_f64 v[32:33], v[6:7], v[80:81], v[32:33]
	s_delay_alu instid0(VALU_DEP_4)
	v_fma_f64 v[6:7], v[6:7], v[78:79], -v[34:35]
	s_clause 0x1
	global_load_b128 v[56:59], v[72:73], off offset:800
	global_load_b128 v[78:81], v[72:73], off offset:784
	v_mul_f64 v[233:234], v[181:182], s[20:21]
	v_mul_f64 v[235:236], v[183:184], s[28:29]
	v_add_f64 v[177:178], v[20:21], v[32:33]
	v_add_f64 v[179:180], v[20:21], -v[32:33]
	v_mul_f64 v[201:202], v[181:182], s[24:25]
	s_delay_alu instid0(VALU_DEP_3) | instskip(NEXT) | instid1(VALU_DEP_3)
	v_mul_f64 v[142:143], v[177:178], s[2:3]
	v_mul_f64 v[144:145], v[179:180], s[48:49]
	s_waitcnt vmcnt(1)
	v_mul_f64 v[34:35], v[10:11], v[56:57]
	v_mul_f64 v[10:11], v[10:11], v[58:59]
	s_delay_alu instid0(VALU_DEP_2) | instskip(NEXT) | instid1(VALU_DEP_2)
	v_fma_f64 v[34:35], v[2:3], v[58:59], v[34:35]
	v_fma_f64 v[10:11], v[2:3], v[56:57], -v[10:11]
	s_waitcnt vmcnt(0)
	v_mul_f64 v[2:3], v[8:9], v[78:79]
	v_mul_f64 v[56:57], v[8:9], v[80:81]
	s_delay_alu instid0(VALU_DEP_4) | instskip(SKIP_1) | instid1(VALU_DEP_4)
	v_add_f64 v[169:170], v[54:55], v[34:35]
	v_add_f64 v[171:172], v[54:55], -v[34:35]
	v_fma_f64 v[8:9], v[0:1], v[80:81], v[2:3]
	s_delay_alu instid0(VALU_DEP_4)
	v_fma_f64 v[56:57], v[0:1], v[78:79], -v[56:57]
	v_add_f64 v[0:1], v[62:63], v[68:69]
	v_add_f64 v[2:3], v[199:200], v[64:65]
	v_mul_f64 v[78:79], v[169:170], s[2:3]
	v_mul_f64 v[112:113], v[171:172], s[48:49]
	v_add_f64 v[173:174], v[48:49], v[8:9]
	v_add_f64 v[175:176], v[48:49], -v[8:9]
	v_add_f64 v[0:1], v[70:71], v[0:1]
	v_add_f64 v[2:3], v[66:67], v[2:3]
	v_mul_f64 v[130:131], v[169:170], s[0:1]
	v_mul_f64 v[132:133], v[171:172], s[4:5]
	;; [unrolled: 1-line block ×4, first 2 shown]
	v_add_f64 v[0:1], v[74:75], v[0:1]
	v_add_f64 v[2:3], v[28:29], v[2:3]
	v_mul_f64 v[136:137], v[175:176], s[44:45]
	s_delay_alu instid0(VALU_DEP_3) | instskip(NEXT) | instid1(VALU_DEP_3)
	v_add_f64 v[0:1], v[52:53], v[0:1]
	v_add_f64 v[2:3], v[30:31], v[2:3]
	v_mul_f64 v[52:53], v[161:162], s[18:19]
	s_delay_alu instid0(VALU_DEP_3) | instskip(NEXT) | instid1(VALU_DEP_3)
	;; [unrolled: 4-line block ×7, first 2 shown]
	v_add_f64 v[0:1], v[32:33], v[0:1]
	v_add_f64 v[2:3], v[6:7], v[2:3]
	scratch_store_b64 off, v[12:13], off offset:120 ; 8-byte Folded Spill
	v_add_f64 v[0:1], v[8:9], v[0:1]
	v_add_f64 v[2:3], v[56:57], v[2:3]
	v_add_f64 v[8:9], v[16:17], -v[6:7]
	v_add_f64 v[6:7], v[16:17], v[6:7]
	v_mul_f64 v[16:17], v[159:160], s[6:7]
	v_add_f64 v[0:1], v[34:35], v[0:1]
	v_add_f64 v[2:3], v[10:11], v[2:3]
	v_add_f64 v[34:35], v[30:31], -v[38:39]
	v_add_f64 v[30:31], v[30:31], v[38:39]
	scratch_store_b64 off, v[16:17], off offset:104 ; 8-byte Folded Spill
	v_add_f64 v[0:1], v[36:37], v[0:1]
	v_add_f64 v[2:3], v[38:39], v[2:3]
	;; [unrolled: 1-line block ×3, first 2 shown]
	v_mul_f64 v[38:39], v[167:168], s[40:41]
	s_delay_alu instid0(VALU_DEP_4) | instskip(NEXT) | instid1(VALU_DEP_4)
	v_add_f64 v[0:1], v[42:43], v[0:1]
	v_add_f64 v[2:3], v[14:15], v[2:3]
	;; [unrolled: 1-line block ×3, first 2 shown]
	s_delay_alu instid0(VALU_DEP_3) | instskip(NEXT) | instid1(VALU_DEP_3)
	v_add_f64 v[0:1], v[44:45], v[0:1]
	v_add_f64 v[58:59], v[46:47], v[2:3]
	;; [unrolled: 1-line block ×3, first 2 shown]
	s_delay_alu instid0(VALU_DEP_4)
	v_fma_f64 v[16:17], v[42:43], s[2:3], -v[16:17]
	v_fma_f64 v[128:129], v[42:43], s[18:19], -v[191:192]
	;; [unrolled: 1-line block ×4, first 2 shown]
	v_add_f64 v[2:3], v[50:51], v[0:1]
	v_add_f64 v[0:1], v[22:23], v[58:59]
	v_mad_u64_u32 v[58:59], null, s8, v146, 0
	v_add_f64 v[50:51], v[64:65], -v[22:23]
	v_add_f64 v[22:23], v[24:25], v[10:11]
	s_delay_alu instid0(VALU_DEP_3) | instskip(NEXT) | instid1(VALU_DEP_1)
	v_mad_u64_u32 v[72:73], null, s9, v146, v[59:60]
	v_dual_mov_b32 v59, v72 :: v_dual_add_nc_u32 v60, 0x138, v146
	v_mul_f64 v[72:73], v[165:166], s[24:25]
	s_delay_alu instid0(VALU_DEP_2) | instskip(NEXT) | instid1(VALU_DEP_1)
	v_lshlrev_b64 v[58:59], 4, v[58:59]
	v_add_co_u32 v58, vcc_lo, v147, v58
	s_delay_alu instid0(VALU_DEP_2)
	v_add_co_ci_u32_e32 v59, vcc_lo, v148, v59, vcc_lo
	global_store_b128 v[58:59], v[0:3], off
	v_add_f64 v[2:3], v[18:19], -v[4:5]
	v_add_f64 v[0:1], v[18:19], v[4:5]
	v_mul_f64 v[4:5], v[153:154], s[0:1]
	v_add_f64 v[58:59], v[66:67], -v[46:47]
	v_add_f64 v[46:47], v[28:29], -v[14:15]
	;; [unrolled: 1-line block ×4, first 2 shown]
	v_add_f64 v[10:11], v[26:27], v[56:57]
	v_mul_f64 v[56:57], v[177:178], s[20:21]
	v_mul_f64 v[26:27], v[173:174], s[2:3]
	;; [unrolled: 1-line block ×4, first 2 shown]
	scratch_store_b64 off, v[4:5], off offset:96 ; 8-byte Folded Spill
	v_fma_f64 v[4:5], v[50:51], s[4:5], v[4:5]
	v_fma_f64 v[12:13], v[58:59], s[6:7], v[12:13]
	s_delay_alu instid0(VALU_DEP_2) | instskip(NEXT) | instid1(VALU_DEP_1)
	v_add_f64 v[4:5], v[62:63], v[4:5]
	v_add_f64 v[4:5], v[12:13], v[4:5]
	v_mul_f64 v[12:13], v[155:156], s[4:5]
	scratch_store_b64 off, v[12:13], off offset:88 ; 8-byte Folded Spill
	v_fma_f64 v[12:13], v[44:45], s[0:1], -v[12:13]
	s_delay_alu instid0(VALU_DEP_1) | instskip(NEXT) | instid1(VALU_DEP_1)
	v_add_f64 v[12:13], v[199:200], v[12:13]
	v_add_f64 v[12:13], v[16:17], v[12:13]
	v_mul_f64 v[16:17], v[161:162], s[10:11]
	scratch_store_b64 off, v[16:17], off offset:144 ; 8-byte Folded Spill
	v_fma_f64 v[16:17], v[46:47], s[14:15], v[16:17]
	s_delay_alu instid0(VALU_DEP_1) | instskip(SKIP_3) | instid1(VALU_DEP_1)
	v_add_f64 v[4:5], v[16:17], v[4:5]
	v_mul_f64 v[16:17], v[163:164], s[14:15]
	scratch_store_b64 off, v[16:17], off offset:80 ; 8-byte Folded Spill
	v_fma_f64 v[16:17], v[36:37], s[10:11], -v[16:17]
	v_add_f64 v[12:13], v[16:17], v[12:13]
	v_mul_f64 v[16:17], v[165:166], s[12:13]
	scratch_store_b64 off, v[16:17], off offset:72 ; 8-byte Folded Spill
	v_fma_f64 v[16:17], v[34:35], s[46:47], v[16:17]
	s_delay_alu instid0(VALU_DEP_1) | instskip(SKIP_3) | instid1(VALU_DEP_1)
	v_add_f64 v[4:5], v[16:17], v[4:5]
	v_mul_f64 v[16:17], v[167:168], s[46:47]
	scratch_store_b64 off, v[16:17], off offset:64 ; 8-byte Folded Spill
	v_fma_f64 v[16:17], v[30:31], s[12:13], -v[16:17]
	;; [unrolled: 9-line block ×4, first 2 shown]
	v_add_f64 v[12:13], v[16:17], v[12:13]
	v_mul_f64 v[16:17], v[177:178], s[16:17]
	scratch_store_b64 off, v[16:17], off offset:24 ; 8-byte Folded Spill
	v_fma_f64 v[16:17], v[8:9], s[38:39], v[16:17]
	s_delay_alu instid0(VALU_DEP_1) | instskip(SKIP_1) | instid1(VALU_DEP_1)
	v_add_f64 v[4:5], v[16:17], v[4:5]
	v_mul_f64 v[16:17], v[179:180], s[38:39]
	v_fma_f64 v[64:65], v[6:7], s[16:17], -v[16:17]
	s_delay_alu instid0(VALU_DEP_1) | instskip(SKIP_1) | instid1(VALU_DEP_1)
	v_add_f64 v[64:65], v[64:65], v[12:13]
	v_mul_f64 v[12:13], v[181:182], s[18:19]
	v_fma_f64 v[68:69], v[2:3], s[44:45], v[12:13]
	s_delay_alu instid0(VALU_DEP_1)
	v_add_f64 v[70:71], v[68:69], v[4:5]
	v_mul_f64 v[4:5], v[183:184], s[44:45]
	s_clause 0x1
	scratch_store_b64 off, v[16:17], off offset:16
	scratch_store_b64 off, v[12:13], off offset:8
	v_mul_f64 v[16:17], v[181:182], s[10:11]
	v_mul_f64 v[12:13], v[183:184], s[42:43]
	scratch_store_b64 off, v[4:5], off      ; 8-byte Folded Spill
	v_fma_f64 v[68:69], v[0:1], s[18:19], -v[4:5]
	v_add_nc_u32_e32 v4, 52, v146
	s_delay_alu instid0(VALU_DEP_2) | instskip(NEXT) | instid1(VALU_DEP_2)
	v_add_f64 v[68:69], v[68:69], v[64:65]
	v_mad_u64_u32 v[64:65], null, s8, v4, 0
	s_delay_alu instid0(VALU_DEP_1) | instskip(SKIP_2) | instid1(VALU_DEP_3)
	v_mad_u64_u32 v[74:75], null, s9, v4, v[65:66]
	v_mul_f64 v[4:5], v[169:170], s[16:17]
	v_mul_f64 v[66:67], v[153:154], s[10:11]
	v_mov_b32_e32 v65, v74
	v_mul_f64 v[74:75], v[167:168], s[36:37]
	s_delay_alu instid0(VALU_DEP_2) | instskip(NEXT) | instid1(VALU_DEP_1)
	v_lshlrev_b64 v[64:65], 4, v[64:65]
	v_add_co_u32 v64, vcc_lo, v147, v64
	s_delay_alu instid0(VALU_DEP_2)
	v_add_co_ci_u32_e32 v65, vcc_lo, v148, v65, vcc_lo
	global_store_b128 v[64:65], v[68:71], off
	v_fma_f64 v[64:65], v[50:51], s[6:7], v[96:97]
	v_fma_f64 v[68:69], v[58:59], s[46:47], v[102:103]
	v_fma_f64 v[70:71], v[42:43], s[12:13], -v[100:101]
	scratch_store_b64 off, v[4:5], off offset:184 ; 8-byte Folded Spill
	v_add_f64 v[64:65], v[62:63], v[64:65]
	s_delay_alu instid0(VALU_DEP_1) | instskip(SKIP_1) | instid1(VALU_DEP_1)
	v_add_f64 v[64:65], v[68:69], v[64:65]
	v_fma_f64 v[68:69], v[44:45], s[2:3], -v[94:95]
	v_add_f64 v[68:69], v[199:200], v[68:69]
	s_delay_alu instid0(VALU_DEP_1) | instskip(SKIP_1) | instid1(VALU_DEP_1)
	v_add_f64 v[68:69], v[70:71], v[68:69]
	v_fma_f64 v[70:71], v[46:47], s[28:29], v[108:109]
	v_add_f64 v[64:65], v[70:71], v[64:65]
	v_fma_f64 v[70:71], v[36:37], s[20:21], -v[90:91]
	s_delay_alu instid0(VALU_DEP_1) | instskip(SKIP_1) | instid1(VALU_DEP_1)
	v_add_f64 v[68:69], v[70:71], v[68:69]
	v_fma_f64 v[70:71], v[34:35], s[44:45], v[86:87]
	v_add_f64 v[64:65], v[70:71], v[64:65]
	v_fma_f64 v[70:71], v[30:31], s[18:19], -v[84:85]
	s_delay_alu instid0(VALU_DEP_1) | instskip(SKIP_2) | instid1(VALU_DEP_2)
	v_add_f64 v[68:69], v[70:71], v[68:69]
	v_fma_f64 v[70:71], v[28:29], s[22:23], v[4:5]
	v_mul_f64 v[4:5], v[171:172], s[22:23]
	v_add_f64 v[64:65], v[70:71], v[64:65]
	scratch_store_b64 off, v[4:5], off offset:176 ; 8-byte Folded Spill
	v_fma_f64 v[70:71], v[22:23], s[16:17], -v[4:5]
	v_mul_f64 v[4:5], v[173:174], s[24:25]
	s_delay_alu instid0(VALU_DEP_2) | instskip(SKIP_3) | instid1(VALU_DEP_2)
	v_add_f64 v[68:69], v[70:71], v[68:69]
	scratch_store_b64 off, v[4:5], off offset:168 ; 8-byte Folded Spill
	v_fma_f64 v[70:71], v[14:15], s[36:37], v[4:5]
	v_mul_f64 v[4:5], v[175:176], s[36:37]
	v_add_f64 v[64:65], v[70:71], v[64:65]
	scratch_store_b64 off, v[4:5], off offset:160 ; 8-byte Folded Spill
	v_fma_f64 v[70:71], v[10:11], s[24:25], -v[4:5]
	v_mul_f64 v[4:5], v[177:178], s[10:11]
	s_delay_alu instid0(VALU_DEP_2) | instskip(SKIP_3) | instid1(VALU_DEP_2)
	v_add_f64 v[68:69], v[70:71], v[68:69]
	scratch_store_b64 off, v[4:5], off offset:152 ; 8-byte Folded Spill
	v_fma_f64 v[70:71], v[8:9], s[42:43], v[4:5]
	v_mul_f64 v[4:5], v[179:180], s[42:43]
	v_add_f64 v[64:65], v[70:71], v[64:65]
	scratch_store_b64 off, v[4:5], off offset:136 ; 8-byte Folded Spill
	v_fma_f64 v[88:89], v[6:7], s[10:11], -v[4:5]
	v_mul_f64 v[4:5], v[181:182], s[0:1]
	v_mul_f64 v[70:71], v[163:164], s[26:27]
	s_delay_alu instid0(VALU_DEP_3) | instskip(SKIP_4) | instid1(VALU_DEP_3)
	v_add_f64 v[88:89], v[88:89], v[68:69]
	scratch_store_b64 off, v[4:5], off offset:128 ; 8-byte Folded Spill
	v_fma_f64 v[92:93], v[2:3], s[40:41], v[4:5]
	v_mul_f64 v[4:5], v[183:184], s[40:41]
	v_mul_f64 v[68:69], v[155:156], s[14:15]
	v_add_f64 v[106:107], v[92:93], v[64:65]
	s_delay_alu instid0(VALU_DEP_3) | instskip(SKIP_4) | instid1(VALU_DEP_3)
	v_fma_f64 v[92:93], v[0:1], s[0:1], -v[4:5]
	scratch_store_b64 off, v[4:5], off offset:112 ; 8-byte Folded Spill
	v_add_nc_u32_e32 v4, 0x68, v146
	v_mul_f64 v[64:65], v[159:160], s[28:29]
	v_add_f64 v[104:105], v[92:93], v[88:89]
	v_mad_u64_u32 v[88:89], null, s8, v4, 0
	s_delay_alu instid0(VALU_DEP_3) | instskip(NEXT) | instid1(VALU_DEP_2)
	v_fma_f64 v[98:99], v[42:43], s[20:21], -v[64:65]
	v_mad_u64_u32 v[92:93], null, s9, v4, v[89:90]
	s_delay_alu instid0(VALU_DEP_1) | instskip(SKIP_1) | instid1(VALU_DEP_2)
	v_dual_mov_b32 v89, v92 :: v_dual_add_nc_u32 v4, 0x9c, v146
	v_fma_f64 v[92:93], v[58:59], s[28:29], v[54:55]
	v_lshlrev_b64 v[88:89], 4, v[88:89]
	s_delay_alu instid0(VALU_DEP_1) | instskip(NEXT) | instid1(VALU_DEP_2)
	v_add_co_u32 v88, vcc_lo, v147, v88
	v_add_co_ci_u32_e32 v89, vcc_lo, v148, v89, vcc_lo
	global_store_b128 v[88:89], v[104:107], off
	v_fma_f64 v[88:89], v[50:51], s[14:15], v[66:67]
	v_mul_f64 v[106:107], v[175:176], s[4:5]
	v_mul_f64 v[104:105], v[177:178], s[12:13]
	s_delay_alu instid0(VALU_DEP_3) | instskip(NEXT) | instid1(VALU_DEP_1)
	v_add_f64 v[88:89], v[62:63], v[88:89]
	v_add_f64 v[88:89], v[92:93], v[88:89]
	v_fma_f64 v[92:93], v[44:45], s[10:11], -v[68:69]
	v_fma_f64 v[68:69], v[44:45], s[10:11], v[68:69]
	s_delay_alu instid0(VALU_DEP_2) | instskip(NEXT) | instid1(VALU_DEP_1)
	v_add_f64 v[92:93], v[199:200], v[92:93]
	v_add_f64 v[92:93], v[98:99], v[92:93]
	v_fma_f64 v[98:99], v[46:47], s[26:27], v[52:53]
	s_delay_alu instid0(VALU_DEP_1) | instskip(SKIP_1) | instid1(VALU_DEP_1)
	v_add_f64 v[88:89], v[98:99], v[88:89]
	v_fma_f64 v[98:99], v[36:37], s[18:19], -v[70:71]
	v_add_f64 v[92:93], v[98:99], v[92:93]
	v_fma_f64 v[98:99], v[34:35], s[36:37], v[72:73]
	s_delay_alu instid0(VALU_DEP_1) | instskip(SKIP_1) | instid1(VALU_DEP_1)
	v_add_f64 v[88:89], v[98:99], v[88:89]
	v_fma_f64 v[98:99], v[30:31], s[24:25], -v[74:75]
	;; [unrolled: 5-line block ×4, first 2 shown]
	v_add_f64 v[92:93], v[98:99], v[92:93]
	v_fma_f64 v[98:99], v[8:9], s[46:47], v[104:105]
	s_delay_alu instid0(VALU_DEP_1) | instskip(SKIP_1) | instid1(VALU_DEP_1)
	v_add_f64 v[88:89], v[98:99], v[88:89]
	v_mul_f64 v[98:99], v[179:180], s[46:47]
	v_fma_f64 v[120:121], v[6:7], s[12:13], -v[98:99]
	s_delay_alu instid0(VALU_DEP_1) | instskip(SKIP_1) | instid1(VALU_DEP_1)
	v_add_f64 v[120:121], v[120:121], v[92:93]
	v_mul_f64 v[92:93], v[181:182], s[16:17]
	v_fma_f64 v[124:125], v[2:3], s[38:39], v[92:93]
	s_delay_alu instid0(VALU_DEP_1) | instskip(SKIP_1) | instid1(VALU_DEP_1)
	v_add_f64 v[140:141], v[124:125], v[88:89]
	v_mul_f64 v[88:89], v[183:184], s[38:39]
	v_fma_f64 v[124:125], v[0:1], s[16:17], -v[88:89]
	s_delay_alu instid0(VALU_DEP_1) | instskip(SKIP_1) | instid1(VALU_DEP_1)
	v_add_f64 v[138:139], v[124:125], v[120:121]
	v_mad_u64_u32 v[120:121], null, s8, v4, 0
	v_mad_u64_u32 v[124:125], null, s9, v4, v[121:122]
	v_add_nc_u32_e32 v4, 0xd0, v146
	v_mul_f64 v[122:123], v[165:166], s[20:21]
	s_delay_alu instid0(VALU_DEP_3) | instskip(SKIP_1) | instid1(VALU_DEP_2)
	v_mov_b32_e32 v121, v124
	v_fma_f64 v[124:125], v[58:59], s[44:45], v[187:188]
	v_lshlrev_b64 v[120:121], 4, v[120:121]
	s_delay_alu instid0(VALU_DEP_1) | instskip(NEXT) | instid1(VALU_DEP_2)
	v_add_co_u32 v120, vcc_lo, v147, v120
	v_add_co_ci_u32_e32 v121, vcc_lo, v148, v121, vcc_lo
	global_store_b128 v[120:121], v[138:141], off
	v_fma_f64 v[120:121], v[50:51], s[46:47], v[185:186]
	v_mul_f64 v[140:141], v[173:174], s[16:17]
	v_mul_f64 v[138:139], v[175:176], s[38:39]
	s_delay_alu instid0(VALU_DEP_3) | instskip(NEXT) | instid1(VALU_DEP_1)
	v_add_f64 v[120:121], v[62:63], v[120:121]
	v_add_f64 v[120:121], v[124:125], v[120:121]
	v_fma_f64 v[124:125], v[44:45], s[12:13], -v[189:190]
	s_delay_alu instid0(VALU_DEP_1) | instskip(NEXT) | instid1(VALU_DEP_1)
	v_add_f64 v[124:125], v[199:200], v[124:125]
	v_add_f64 v[124:125], v[128:129], v[124:125]
	v_fma_f64 v[128:129], v[46:47], s[36:37], v[193:194]
	s_delay_alu instid0(VALU_DEP_1) | instskip(SKIP_1) | instid1(VALU_DEP_1)
	v_add_f64 v[120:121], v[128:129], v[120:121]
	v_fma_f64 v[128:129], v[36:37], s[24:25], -v[195:196]
	v_add_f64 v[124:125], v[128:129], v[124:125]
	v_fma_f64 v[128:129], v[34:35], s[40:41], v[197:198]
	s_delay_alu instid0(VALU_DEP_1) | instskip(SKIP_2) | instid1(VALU_DEP_2)
	v_add_f64 v[120:121], v[128:129], v[120:121]
	v_fma_f64 v[128:129], v[30:31], s[0:1], -v[38:39]
	v_fma_f64 v[38:39], v[30:31], s[0:1], v[38:39]
	v_add_f64 v[124:125], v[128:129], v[124:125]
	v_fma_f64 v[128:129], v[28:29], s[14:15], v[40:41]
	s_delay_alu instid0(VALU_DEP_1) | instskip(SKIP_1) | instid1(VALU_DEP_1)
	v_add_f64 v[120:121], v[128:129], v[120:121]
	v_fma_f64 v[128:129], v[22:23], s[10:11], -v[48:49]
	v_add_f64 v[124:125], v[128:129], v[124:125]
	v_fma_f64 v[128:129], v[14:15], s[38:39], v[140:141]
	s_delay_alu instid0(VALU_DEP_1) | instskip(SKIP_1) | instid1(VALU_DEP_1)
	v_add_f64 v[120:121], v[128:129], v[120:121]
	v_fma_f64 v[128:129], v[10:11], s[16:17], -v[138:139]
	v_add_f64 v[124:125], v[128:129], v[124:125]
	v_fma_f64 v[128:129], v[8:9], s[34:35], v[56:57]
	s_delay_alu instid0(VALU_DEP_1) | instskip(SKIP_1) | instid1(VALU_DEP_1)
	v_add_f64 v[120:121], v[128:129], v[120:121]
	v_mul_f64 v[128:129], v[179:180], s[34:35]
	v_fma_f64 v[149:150], v[6:7], s[20:21], -v[128:129]
	s_delay_alu instid0(VALU_DEP_1) | instskip(SKIP_1) | instid1(VALU_DEP_1)
	v_add_f64 v[149:150], v[149:150], v[124:125]
	v_mul_f64 v[124:125], v[181:182], s[2:3]
	v_fma_f64 v[151:152], v[2:3], s[48:49], v[124:125]
	s_delay_alu instid0(VALU_DEP_1) | instskip(SKIP_1) | instid1(VALU_DEP_1)
	v_add_f64 v[151:152], v[151:152], v[120:121]
	v_mul_f64 v[120:121], v[183:184], s[48:49]
	v_fma_f64 v[203:204], v[0:1], s[2:3], -v[120:121]
	s_delay_alu instid0(VALU_DEP_1) | instskip(SKIP_1) | instid1(VALU_DEP_1)
	v_add_f64 v[149:150], v[203:204], v[149:150]
	v_mad_u64_u32 v[203:204], null, s8, v4, 0
	v_mad_u64_u32 v[205:206], null, s9, v4, v[204:205]
	v_add_nc_u32_e32 v4, 0x104, v146
	s_delay_alu instid0(VALU_DEP_2) | instskip(SKIP_1) | instid1(VALU_DEP_2)
	v_mov_b32_e32 v204, v205
	v_mul_f64 v[205:206], v[157:158], s[16:17]
	v_lshlrev_b64 v[203:204], 4, v[203:204]
	s_delay_alu instid0(VALU_DEP_1) | instskip(NEXT) | instid1(VALU_DEP_2)
	v_add_co_u32 v203, vcc_lo, v147, v203
	v_add_co_ci_u32_e32 v204, vcc_lo, v148, v204, vcc_lo
	global_store_b128 v[203:204], v[149:152], off
	v_mul_f64 v[203:204], v[153:154], s[24:25]
	v_fma_f64 v[151:152], v[58:59], s[22:23], v[205:206]
	s_delay_alu instid0(VALU_DEP_2) | instskip(NEXT) | instid1(VALU_DEP_1)
	v_fma_f64 v[149:150], v[50:51], s[30:31], v[203:204]
	v_add_f64 v[149:150], v[62:63], v[149:150]
	s_delay_alu instid0(VALU_DEP_1) | instskip(SKIP_1) | instid1(VALU_DEP_1)
	v_add_f64 v[149:150], v[151:152], v[149:150]
	v_fma_f64 v[151:152], v[44:45], s[24:25], -v[207:208]
	v_add_f64 v[151:152], v[199:200], v[151:152]
	s_delay_alu instid0(VALU_DEP_1) | instskip(SKIP_1) | instid1(VALU_DEP_1)
	v_add_f64 v[151:152], v[211:212], v[151:152]
	v_mul_f64 v[211:212], v[161:162], s[2:3]
	v_fma_f64 v[213:214], v[46:47], s[48:49], v[211:212]
	s_delay_alu instid0(VALU_DEP_1) | instskip(SKIP_1) | instid1(VALU_DEP_1)
	v_add_f64 v[149:150], v[213:214], v[149:150]
	v_mul_f64 v[213:214], v[163:164], s[48:49]
	v_fma_f64 v[215:216], v[36:37], s[2:3], -v[213:214]
	s_delay_alu instid0(VALU_DEP_1) | instskip(SKIP_1) | instid1(VALU_DEP_1)
	v_add_f64 v[151:152], v[215:216], v[151:152]
	v_mul_f64 v[215:216], v[165:166], s[10:11]
	v_fma_f64 v[217:218], v[34:35], s[14:15], v[215:216]
	s_delay_alu instid0(VALU_DEP_1) | instskip(SKIP_1) | instid1(VALU_DEP_1)
	v_add_f64 v[149:150], v[217:218], v[149:150]
	v_mul_f64 v[217:218], v[167:168], s[14:15]
	v_fma_f64 v[219:220], v[30:31], s[10:11], -v[217:218]
	s_delay_alu instid0(VALU_DEP_1) | instskip(SKIP_1) | instid1(VALU_DEP_1)
	v_add_f64 v[151:152], v[219:220], v[151:152]
	v_mul_f64 v[219:220], v[169:170], s[18:19]
	v_fma_f64 v[221:222], v[28:29], s[44:45], v[219:220]
	s_delay_alu instid0(VALU_DEP_1) | instskip(SKIP_1) | instid1(VALU_DEP_1)
	v_add_f64 v[149:150], v[221:222], v[149:150]
	v_mul_f64 v[221:222], v[171:172], s[44:45]
	v_fma_f64 v[223:224], v[22:23], s[18:19], -v[221:222]
	s_delay_alu instid0(VALU_DEP_1) | instskip(SKIP_1) | instid1(VALU_DEP_1)
	v_add_f64 v[151:152], v[223:224], v[151:152]
	v_mul_f64 v[223:224], v[173:174], s[12:13]
	v_fma_f64 v[225:226], v[14:15], s[50:51], v[223:224]
	s_delay_alu instid0(VALU_DEP_1) | instskip(SKIP_1) | instid1(VALU_DEP_1)
	v_add_f64 v[149:150], v[225:226], v[149:150]
	v_mul_f64 v[225:226], v[175:176], s[50:51]
	v_fma_f64 v[227:228], v[10:11], s[12:13], -v[225:226]
	s_delay_alu instid0(VALU_DEP_1) | instskip(SKIP_1) | instid1(VALU_DEP_1)
	v_add_f64 v[151:152], v[227:228], v[151:152]
	v_mul_f64 v[227:228], v[177:178], s[0:1]
	v_fma_f64 v[229:230], v[8:9], s[4:5], v[227:228]
	s_delay_alu instid0(VALU_DEP_1) | instskip(SKIP_1) | instid1(VALU_DEP_1)
	v_add_f64 v[149:150], v[229:230], v[149:150]
	v_mul_f64 v[229:230], v[179:180], s[4:5]
	v_fma_f64 v[231:232], v[6:7], s[0:1], -v[229:230]
	s_delay_alu instid0(VALU_DEP_1) | instskip(SKIP_1) | instid1(VALU_DEP_1)
	v_add_f64 v[231:232], v[231:232], v[151:152]
	v_fma_f64 v[151:152], v[2:3], s[28:29], v[233:234]
	v_add_f64 v[151:152], v[151:152], v[149:150]
	v_fma_f64 v[149:150], v[0:1], s[20:21], -v[235:236]
	s_delay_alu instid0(VALU_DEP_1) | instskip(SKIP_1) | instid1(VALU_DEP_1)
	v_add_f64 v[149:150], v[149:150], v[231:232]
	v_mad_u64_u32 v[231:232], null, s8, v4, 0
	v_mad_u64_u32 v[237:238], null, s9, v4, v[232:233]
	s_delay_alu instid0(VALU_DEP_1) | instskip(SKIP_1) | instid1(VALU_DEP_2)
	v_mov_b32_e32 v232, v237
	v_mul_f64 v[237:238], v[157:158], s[24:25]
	v_lshlrev_b64 v[231:232], 4, v[231:232]
	s_delay_alu instid0(VALU_DEP_1) | instskip(NEXT) | instid1(VALU_DEP_2)
	v_add_co_u32 v231, vcc_lo, v147, v231
	v_add_co_ci_u32_e32 v232, vcc_lo, v148, v232, vcc_lo
	global_store_b128 v[231:232], v[149:152], off
	v_mul_f64 v[231:232], v[153:154], s[20:21]
	v_fma_f64 v[151:152], v[58:59], s[36:37], v[237:238]
	s_delay_alu instid0(VALU_DEP_2) | instskip(NEXT) | instid1(VALU_DEP_1)
	v_fma_f64 v[149:150], v[50:51], s[28:29], v[231:232]
	v_add_f64 v[149:150], v[62:63], v[149:150]
	s_delay_alu instid0(VALU_DEP_1) | instskip(SKIP_1) | instid1(VALU_DEP_1)
	v_add_f64 v[149:150], v[151:152], v[149:150]
	v_fma_f64 v[151:152], v[44:45], s[20:21], -v[239:240]
	v_add_f64 v[151:152], v[199:200], v[151:152]
	s_delay_alu instid0(VALU_DEP_1) | instskip(SKIP_1) | instid1(VALU_DEP_1)
	v_add_f64 v[151:152], v[243:244], v[151:152]
	v_mul_f64 v[243:244], v[161:162], s[0:1]
	v_fma_f64 v[245:246], v[46:47], s[4:5], v[243:244]
	s_delay_alu instid0(VALU_DEP_1) | instskip(SKIP_1) | instid1(VALU_DEP_1)
	v_add_f64 v[149:150], v[245:246], v[149:150]
	v_mul_f64 v[245:246], v[163:164], s[4:5]
	v_fma_f64 v[247:248], v[36:37], s[0:1], -v[245:246]
	s_delay_alu instid0(VALU_DEP_1) | instskip(SKIP_1) | instid1(VALU_DEP_1)
	v_add_f64 v[151:152], v[247:248], v[151:152]
	v_mul_f64 v[247:248], v[165:166], s[16:17]
	v_fma_f64 v[249:250], v[34:35], s[38:39], v[247:248]
	s_delay_alu instid0(VALU_DEP_1) | instskip(SKIP_1) | instid1(VALU_DEP_1)
	v_add_f64 v[149:150], v[249:250], v[149:150]
	v_mul_f64 v[249:250], v[167:168], s[38:39]
	v_fma_f64 v[251:252], v[30:31], s[16:17], -v[249:250]
	;; [unrolled: 8-line block ×3, first 2 shown]
	s_delay_alu instid0(VALU_DEP_1) | instskip(SKIP_2) | instid1(VALU_DEP_2)
	v_add_f64 v[4:5], v[4:5], v[151:152]
	v_fma_f64 v[151:152], v[14:15], s[6:7], v[26:27]
	v_fma_f64 v[26:27], v[14:15], s[48:49], v[26:27]
	v_add_f64 v[149:150], v[151:152], v[149:150]
	v_fma_f64 v[151:152], v[10:11], s[2:3], -v[24:25]
	v_fma_f64 v[24:25], v[10:11], s[2:3], v[24:25]
	s_delay_alu instid0(VALU_DEP_2) | instskip(SKIP_2) | instid1(VALU_DEP_2)
	v_add_f64 v[4:5], v[151:152], v[4:5]
	v_fma_f64 v[151:152], v[8:9], s[44:45], v[20:21]
	v_fma_f64 v[20:21], v[8:9], s[26:27], v[20:21]
	v_add_f64 v[149:150], v[151:152], v[149:150]
	v_fma_f64 v[151:152], v[6:7], s[18:19], -v[18:19]
	v_fma_f64 v[18:19], v[6:7], s[18:19], v[18:19]
	s_delay_alu instid0(VALU_DEP_2) | instskip(SKIP_2) | instid1(VALU_DEP_2)
	v_add_f64 v[4:5], v[151:152], v[4:5]
	v_fma_f64 v[151:152], v[2:3], s[42:43], v[16:17]
	v_fma_f64 v[16:17], v[2:3], s[14:15], v[16:17]
	v_add_f64 v[151:152], v[151:152], v[149:150]
	v_fma_f64 v[149:150], v[0:1], s[10:11], -v[12:13]
	v_fma_f64 v[12:13], v[0:1], s[10:11], v[12:13]
	s_delay_alu instid0(VALU_DEP_2) | instskip(SKIP_1) | instid1(VALU_DEP_1)
	v_add_f64 v[149:150], v[149:150], v[4:5]
	v_mad_u64_u32 v[4:5], null, s8, v60, 0
	v_mad_u64_u32 v[32:33], null, s9, v60, v[5:6]
	v_mul_f64 v[60:61], v[157:158], s[10:11]
	s_delay_alu instid0(VALU_DEP_2) | instskip(NEXT) | instid1(VALU_DEP_1)
	v_mov_b32_e32 v5, v32
	v_lshlrev_b64 v[4:5], 4, v[4:5]
	s_delay_alu instid0(VALU_DEP_1) | instskip(NEXT) | instid1(VALU_DEP_2)
	v_add_co_u32 v4, vcc_lo, v147, v4
	v_add_co_ci_u32_e32 v5, vcc_lo, v148, v5, vcc_lo
	global_store_b128 v[4:5], v[149:152], off
	v_mul_f64 v[4:5], v[153:154], s[16:17]
	v_fma_f64 v[151:152], v[42:43], s[10:11], -v[114:115]
	v_fma_f64 v[149:150], v[58:59], s[42:43], v[60:61]
	v_fma_f64 v[60:61], v[58:59], s[14:15], v[60:61]
	s_delay_alu instid0(VALU_DEP_4) | instskip(SKIP_1) | instid1(VALU_DEP_2)
	v_fma_f64 v[32:33], v[50:51], s[38:39], v[4:5]
	v_fma_f64 v[4:5], v[50:51], s[22:23], v[4:5]
	v_add_f64 v[32:33], v[62:63], v[32:33]
	s_delay_alu instid0(VALU_DEP_2) | instskip(NEXT) | instid1(VALU_DEP_2)
	v_add_f64 v[4:5], v[62:63], v[4:5]
	v_add_f64 v[32:33], v[149:150], v[32:33]
	v_fma_f64 v[149:150], v[44:45], s[16:17], -v[76:77]
	s_delay_alu instid0(VALU_DEP_3) | instskip(SKIP_2) | instid1(VALU_DEP_4)
	v_add_f64 v[4:5], v[60:61], v[4:5]
	v_fma_f64 v[60:61], v[44:45], s[16:17], v[76:77]
	v_fma_f64 v[76:77], v[42:43], s[10:11], v[114:115]
	v_add_f64 v[149:150], v[199:200], v[149:150]
	s_delay_alu instid0(VALU_DEP_3) | instskip(NEXT) | instid1(VALU_DEP_2)
	v_add_f64 v[60:61], v[199:200], v[60:61]
	v_add_f64 v[149:150], v[151:152], v[149:150]
	v_fma_f64 v[151:152], v[46:47], s[46:47], v[116:117]
	s_delay_alu instid0(VALU_DEP_3) | instskip(SKIP_1) | instid1(VALU_DEP_3)
	v_add_f64 v[60:61], v[76:77], v[60:61]
	v_fma_f64 v[76:77], v[46:47], s[50:51], v[116:117]
	v_add_f64 v[32:33], v[151:152], v[32:33]
	v_fma_f64 v[151:152], v[36:37], s[12:13], -v[118:119]
	s_delay_alu instid0(VALU_DEP_3) | instskip(SKIP_1) | instid1(VALU_DEP_3)
	v_add_f64 v[4:5], v[76:77], v[4:5]
	v_fma_f64 v[76:77], v[36:37], s[12:13], v[118:119]
	v_add_f64 v[149:150], v[151:152], v[149:150]
	v_fma_f64 v[151:152], v[34:35], s[34:35], v[122:123]
	s_delay_alu instid0(VALU_DEP_3) | instskip(SKIP_1) | instid1(VALU_DEP_3)
	v_add_f64 v[60:61], v[76:77], v[60:61]
	v_fma_f64 v[76:77], v[34:35], s[28:29], v[122:123]
	v_add_f64 v[32:33], v[151:152], v[32:33]
	v_fma_f64 v[151:152], v[30:31], s[20:21], -v[126:127]
	s_delay_alu instid0(VALU_DEP_3) | instskip(SKIP_1) | instid1(VALU_DEP_3)
	v_add_f64 v[4:5], v[76:77], v[4:5]
	v_fma_f64 v[76:77], v[30:31], s[20:21], v[126:127]
	;; [unrolled: 10-line block ×5, first 2 shown]
	v_add_f64 v[149:150], v[151:152], v[149:150]
	v_fma_f64 v[151:152], v[2:3], s[30:31], v[201:202]
	s_delay_alu instid0(VALU_DEP_3) | instskip(SKIP_1) | instid1(VALU_DEP_3)
	v_add_f64 v[60:61], v[76:77], v[60:61]
	v_fma_f64 v[76:77], v[2:3], s[36:37], v[201:202]
	v_add_f64 v[151:152], v[151:152], v[32:33]
	v_mul_f64 v[32:33], v[183:184], s[30:31]
	s_delay_alu instid0(VALU_DEP_1) | instskip(SKIP_1) | instid1(VALU_DEP_2)
	v_fma_f64 v[80:81], v[0:1], s[24:25], -v[32:33]
	v_fma_f64 v[32:33], v[0:1], s[24:25], v[32:33]
	v_add_f64 v[149:150], v[80:81], v[149:150]
	v_mad_u64_u32 v[80:81], null, s8, v255, 0
	s_delay_alu instid0(VALU_DEP_1) | instskip(SKIP_1) | instid1(VALU_DEP_2)
	v_mad_u64_u32 v[82:83], null, s9, v255, v[81:82]
	v_add_nc_u32_e32 v255, 0x1a0, v146
	v_mov_b32_e32 v81, v82
	v_mul_f64 v[82:83], v[157:158], s[0:1]
	s_delay_alu instid0(VALU_DEP_2) | instskip(NEXT) | instid1(VALU_DEP_1)
	v_lshlrev_b64 v[80:81], 4, v[80:81]
	v_add_co_u32 v80, vcc_lo, v147, v80
	s_delay_alu instid0(VALU_DEP_2)
	v_add_co_ci_u32_e32 v81, vcc_lo, v148, v81, vcc_lo
	global_store_b128 v[80:81], v[149:152], off
	v_mul_f64 v[80:81], v[153:154], s[18:19]
	v_mul_f64 v[153:154], v[155:156], s[44:45]
	;; [unrolled: 1-line block ×3, first 2 shown]
	v_fma_f64 v[151:152], v[58:59], s[40:41], v[82:83]
	v_fma_f64 v[82:83], v[58:59], s[4:5], v[82:83]
	;; [unrolled: 1-line block ×4, first 2 shown]
	v_fma_f64 v[157:158], v[42:43], s[0:1], -v[155:156]
	s_delay_alu instid0(VALU_DEP_3) | instskip(NEXT) | instid1(VALU_DEP_3)
	v_add_f64 v[149:150], v[62:63], v[149:150]
	v_add_f64 v[80:81], v[62:63], v[80:81]
	s_delay_alu instid0(VALU_DEP_2) | instskip(SKIP_1) | instid1(VALU_DEP_3)
	v_add_f64 v[149:150], v[151:152], v[149:150]
	v_fma_f64 v[151:152], v[44:45], s[18:19], -v[153:154]
	v_add_f64 v[80:81], v[82:83], v[80:81]
	v_fma_f64 v[82:83], v[44:45], s[18:19], v[153:154]
	s_delay_alu instid0(VALU_DEP_3) | instskip(NEXT) | instid1(VALU_DEP_2)
	v_add_f64 v[151:152], v[199:200], v[151:152]
	v_add_f64 v[82:83], v[199:200], v[82:83]
	s_delay_alu instid0(VALU_DEP_2) | instskip(SKIP_1) | instid1(VALU_DEP_1)
	v_add_f64 v[151:152], v[157:158], v[151:152]
	v_mul_f64 v[157:158], v[161:162], s[16:17]
	v_fma_f64 v[159:160], v[46:47], s[38:39], v[157:158]
	s_delay_alu instid0(VALU_DEP_1) | instskip(SKIP_1) | instid1(VALU_DEP_1)
	v_add_f64 v[149:150], v[159:160], v[149:150]
	v_mul_f64 v[159:160], v[163:164], s[38:39]
	v_fma_f64 v[161:162], v[36:37], s[16:17], -v[159:160]
	s_delay_alu instid0(VALU_DEP_1) | instskip(SKIP_1) | instid1(VALU_DEP_1)
	v_add_f64 v[151:152], v[161:162], v[151:152]
	v_mul_f64 v[161:162], v[165:166], s[2:3]
	v_fma_f64 v[163:164], v[34:35], s[48:49], v[161:162]
	s_delay_alu instid0(VALU_DEP_1) | instskip(SKIP_1) | instid1(VALU_DEP_1)
	v_add_f64 v[149:150], v[163:164], v[149:150]
	v_mul_f64 v[163:164], v[167:168], s[48:49]
	v_fma_f64 v[165:166], v[30:31], s[2:3], -v[163:164]
	s_delay_alu instid0(VALU_DEP_1) | instskip(SKIP_1) | instid1(VALU_DEP_1)
	;; [unrolled: 8-line block ×4, first 2 shown]
	v_add_f64 v[151:152], v[173:174], v[151:152]
	v_mul_f64 v[173:174], v[177:178], s[24:25]
	v_fma_f64 v[175:176], v[8:9], s[30:31], v[173:174]
	s_delay_alu instid0(VALU_DEP_1) | instskip(SKIP_3) | instid1(VALU_DEP_3)
	v_add_f64 v[149:150], v[175:176], v[149:150]
	v_mul_f64 v[175:176], v[179:180], s[30:31]
	v_mul_f64 v[179:180], v[181:182], s[12:13]
	;; [unrolled: 1-line block ×3, first 2 shown]
	v_fma_f64 v[177:178], v[6:7], s[24:25], -v[175:176]
	s_delay_alu instid0(VALU_DEP_2) | instskip(NEXT) | instid1(VALU_DEP_2)
	v_fma_f64 v[153:154], v[0:1], s[12:13], v[181:182]
	v_add_f64 v[177:178], v[177:178], v[151:152]
	v_fma_f64 v[151:152], v[2:3], s[50:51], v[179:180]
	s_delay_alu instid0(VALU_DEP_1) | instskip(SKIP_1) | instid1(VALU_DEP_1)
	v_add_f64 v[151:152], v[151:152], v[149:150]
	v_fma_f64 v[149:150], v[0:1], s[12:13], -v[181:182]
	v_add_f64 v[149:150], v[149:150], v[177:178]
	v_mad_u64_u32 v[177:178], null, s8, v255, 0
	s_delay_alu instid0(VALU_DEP_1) | instskip(NEXT) | instid1(VALU_DEP_1)
	v_mad_u64_u32 v[183:184], null, s9, v255, v[178:179]
	v_mov_b32_e32 v178, v183
	s_delay_alu instid0(VALU_DEP_1) | instskip(NEXT) | instid1(VALU_DEP_1)
	v_lshlrev_b64 v[177:178], 4, v[177:178]
	v_add_co_u32 v177, vcc_lo, v147, v177
	s_delay_alu instid0(VALU_DEP_2) | instskip(SKIP_2) | instid1(VALU_DEP_1)
	v_add_co_ci_u32_e32 v178, vcc_lo, v148, v178, vcc_lo
	global_store_b128 v[177:178], v[149:152], off
	v_fma_f64 v[149:150], v[42:43], s[0:1], v[155:156]
	v_add_f64 v[82:83], v[149:150], v[82:83]
	v_fma_f64 v[149:150], v[46:47], s[22:23], v[157:158]
	s_delay_alu instid0(VALU_DEP_1) | instskip(SKIP_1) | instid1(VALU_DEP_1)
	v_add_f64 v[80:81], v[149:150], v[80:81]
	v_fma_f64 v[149:150], v[36:37], s[16:17], v[159:160]
	v_add_f64 v[82:83], v[149:150], v[82:83]
	v_fma_f64 v[149:150], v[34:35], s[6:7], v[161:162]
	s_delay_alu instid0(VALU_DEP_1) | instskip(SKIP_1) | instid1(VALU_DEP_1)
	v_add_f64 v[80:81], v[149:150], v[80:81]
	;; [unrolled: 5-line block ×5, first 2 shown]
	v_fma_f64 v[149:150], v[6:7], s[24:25], v[175:176]
	v_add_f64 v[82:83], v[149:150], v[82:83]
	v_fma_f64 v[149:150], v[2:3], s[46:47], v[179:180]
	s_delay_alu instid0(VALU_DEP_1) | instskip(NEXT) | instid1(VALU_DEP_3)
	v_add_f64 v[151:152], v[149:150], v[80:81]
	v_add_f64 v[149:150], v[153:154], v[82:83]
	v_add_nc_u32_e32 v153, 0x1d4, v146
	s_delay_alu instid0(VALU_DEP_1) | instskip(NEXT) | instid1(VALU_DEP_1)
	v_mad_u64_u32 v[80:81], null, s8, v153, 0
	v_mad_u64_u32 v[82:83], null, s9, v153, v[81:82]
	s_delay_alu instid0(VALU_DEP_1) | instskip(NEXT) | instid1(VALU_DEP_1)
	v_mov_b32_e32 v81, v82
	v_lshlrev_b64 v[80:81], 4, v[80:81]
	s_delay_alu instid0(VALU_DEP_1) | instskip(NEXT) | instid1(VALU_DEP_2)
	v_add_co_u32 v80, vcc_lo, v147, v80
	v_add_co_ci_u32_e32 v81, vcc_lo, v148, v81, vcc_lo
	global_store_b128 v[80:81], v[149:152], off
	v_add_f64 v[149:150], v[32:33], v[60:61]
	v_add_nc_u32_e32 v60, 0x208, v146
	v_add_f64 v[151:152], v[76:77], v[4:5]
	v_fma_f64 v[76:77], v[44:45], s[2:3], v[94:95]
	scratch_load_b64 v[80:81], off, off offset:88 ; 8-byte Folded Reload
	v_mad_u64_u32 v[4:5], null, s8, v60, 0
	s_delay_alu instid0(VALU_DEP_1) | instskip(SKIP_1) | instid1(VALU_DEP_2)
	v_mad_u64_u32 v[32:33], null, s9, v60, v[5:6]
	v_fma_f64 v[60:61], v[42:43], s[24:25], v[241:242]
	v_mov_b32_e32 v5, v32
	v_fma_f64 v[32:33], v[58:59], s[30:31], v[237:238]
	s_delay_alu instid0(VALU_DEP_2) | instskip(NEXT) | instid1(VALU_DEP_1)
	v_lshlrev_b64 v[4:5], 4, v[4:5]
	v_add_co_u32 v4, vcc_lo, v147, v4
	s_delay_alu instid0(VALU_DEP_2) | instskip(SKIP_2) | instid1(VALU_DEP_1)
	v_add_co_ci_u32_e32 v5, vcc_lo, v148, v5, vcc_lo
	global_store_b128 v[4:5], v[149:152], off
	v_fma_f64 v[4:5], v[50:51], s[34:35], v[231:232]
	v_add_f64 v[4:5], v[62:63], v[4:5]
	s_delay_alu instid0(VALU_DEP_1) | instskip(SKIP_1) | instid1(VALU_DEP_1)
	v_add_f64 v[4:5], v[32:33], v[4:5]
	v_fma_f64 v[32:33], v[44:45], s[20:21], v[239:240]
	v_add_f64 v[32:33], v[199:200], v[32:33]
	s_delay_alu instid0(VALU_DEP_1) | instskip(SKIP_1) | instid1(VALU_DEP_1)
	v_add_f64 v[32:33], v[60:61], v[32:33]
	v_fma_f64 v[60:61], v[46:47], s[40:41], v[243:244]
	v_add_f64 v[4:5], v[60:61], v[4:5]
	v_fma_f64 v[60:61], v[36:37], s[0:1], v[245:246]
	s_delay_alu instid0(VALU_DEP_1) | instskip(SKIP_1) | instid1(VALU_DEP_1)
	v_add_f64 v[32:33], v[60:61], v[32:33]
	v_fma_f64 v[60:61], v[34:35], s[22:23], v[247:248]
	v_add_f64 v[4:5], v[60:61], v[4:5]
	v_fma_f64 v[60:61], v[30:31], s[16:17], v[249:250]
	;; [unrolled: 5-line block ×3, first 2 shown]
	s_delay_alu instid0(VALU_DEP_2) | instskip(NEXT) | instid1(VALU_DEP_2)
	v_add_f64 v[4:5], v[26:27], v[4:5]
	v_add_f64 v[32:33], v[60:61], v[32:33]
	v_fma_f64 v[26:27], v[58:59], s[50:51], v[102:103]
	v_fma_f64 v[60:61], v[42:43], s[20:21], v[64:65]
	v_fma_f64 v[64:65], v[42:43], s[12:13], v[100:101]
	v_add_f64 v[4:5], v[20:21], v[4:5]
	v_add_f64 v[24:25], v[24:25], v[32:33]
	scratch_load_b64 v[32:33], off, off offset:120 ; 8-byte Folded Reload
	v_fma_f64 v[20:21], v[58:59], s[26:27], v[187:188]
	v_add_f64 v[151:152], v[16:17], v[4:5]
	v_add_f64 v[18:19], v[18:19], v[24:25]
	v_add_nc_u32_e32 v16, 0x23c, v146
	v_fma_f64 v[24:25], v[58:59], s[34:35], v[54:55]
	v_fma_f64 v[54:55], v[50:51], s[48:49], v[96:97]
	s_delay_alu instid0(VALU_DEP_3) | instskip(SKIP_1) | instid1(VALU_DEP_2)
	v_mad_u64_u32 v[4:5], null, s8, v16, 0
	v_add_f64 v[149:150], v[12:13], v[18:19]
	v_mad_u64_u32 v[12:13], null, s9, v16, v[5:6]
	v_fma_f64 v[16:17], v[42:43], s[16:17], v[209:210]
	v_fma_f64 v[18:19], v[0:1], s[20:21], v[235:236]
	v_add_f64 v[54:55], v[62:63], v[54:55]
	s_delay_alu instid0(VALU_DEP_4) | instskip(SKIP_1) | instid1(VALU_DEP_2)
	v_mov_b32_e32 v5, v12
	v_fma_f64 v[12:13], v[58:59], s[38:39], v[205:206]
	v_lshlrev_b64 v[4:5], 4, v[4:5]
	s_delay_alu instid0(VALU_DEP_1) | instskip(NEXT) | instid1(VALU_DEP_2)
	v_add_co_u32 v4, vcc_lo, v147, v4
	v_add_co_ci_u32_e32 v5, vcc_lo, v148, v5, vcc_lo
	global_store_b128 v[4:5], v[149:152], off
	v_fma_f64 v[4:5], v[50:51], s[36:37], v[203:204]
	v_add_f64 v[26:27], v[26:27], v[54:55]
	s_delay_alu instid0(VALU_DEP_2) | instskip(NEXT) | instid1(VALU_DEP_1)
	v_add_f64 v[4:5], v[62:63], v[4:5]
	v_add_f64 v[4:5], v[12:13], v[4:5]
	v_fma_f64 v[12:13], v[44:45], s[24:25], v[207:208]
	s_delay_alu instid0(VALU_DEP_1) | instskip(NEXT) | instid1(VALU_DEP_1)
	v_add_f64 v[12:13], v[199:200], v[12:13]
	v_add_f64 v[12:13], v[16:17], v[12:13]
	v_fma_f64 v[16:17], v[46:47], s[6:7], v[211:212]
	s_delay_alu instid0(VALU_DEP_1) | instskip(SKIP_1) | instid1(VALU_DEP_1)
	v_add_f64 v[4:5], v[16:17], v[4:5]
	v_fma_f64 v[16:17], v[36:37], s[2:3], v[213:214]
	v_add_f64 v[12:13], v[16:17], v[12:13]
	v_fma_f64 v[16:17], v[34:35], s[42:43], v[215:216]
	s_delay_alu instid0(VALU_DEP_1) | instskip(SKIP_1) | instid1(VALU_DEP_1)
	v_add_f64 v[4:5], v[16:17], v[4:5]
	v_fma_f64 v[16:17], v[30:31], s[10:11], v[217:218]
	;; [unrolled: 5-line block ×5, first 2 shown]
	v_add_f64 v[12:13], v[16:17], v[12:13]
	v_fma_f64 v[16:17], v[2:3], s[34:35], v[233:234]
	s_delay_alu instid0(VALU_DEP_2)
	v_add_f64 v[149:150], v[18:19], v[12:13]
	scratch_load_b64 v[18:19], off, off offset:144 ; 8-byte Folded Reload
	v_fma_f64 v[12:13], v[46:47], s[44:45], v[52:53]
	v_fma_f64 v[52:53], v[50:51], s[42:43], v[66:67]
	scratch_load_b64 v[66:67], off, off offset:104 ; 8-byte Folded Reload
	s_waitcnt vmcnt(2)
	v_fma_f64 v[32:33], v[58:59], s[48:49], v[32:33]
	scratch_load_b64 v[58:59], off, off offset:96 ; 8-byte Folded Reload
	v_add_f64 v[151:152], v[16:17], v[4:5]
	v_fma_f64 v[4:5], v[46:47], s[30:31], v[193:194]
	v_fma_f64 v[16:17], v[46:47], s[34:35], v[108:109]
	v_add_f64 v[52:53], v[62:63], v[52:53]
	s_delay_alu instid0(VALU_DEP_2) | instskip(NEXT) | instid1(VALU_DEP_2)
	v_add_f64 v[16:17], v[16:17], v[26:27]
	v_add_f64 v[24:25], v[24:25], v[52:53]
	s_delay_alu instid0(VALU_DEP_1)
	v_add_f64 v[12:13], v[12:13], v[24:25]
	s_waitcnt vmcnt(2)
	v_fma_f64 v[18:19], v[46:47], s[42:43], v[18:19]
	v_fma_f64 v[46:47], v[50:51], s[50:51], v[185:186]
	s_waitcnt vmcnt(0)
	v_fma_f64 v[50:51], v[50:51], s[40:41], v[58:59]
	v_fma_f64 v[58:59], v[42:43], s[18:19], v[191:192]
	;; [unrolled: 1-line block ×4, first 2 shown]
	v_add_f64 v[46:47], v[62:63], v[46:47]
	v_add_f64 v[50:51], v[62:63], v[50:51]
	s_delay_alu instid0(VALU_DEP_3)
	v_add_f64 v[62:63], v[199:200], v[66:67]
	v_add_f64 v[66:67], v[199:200], v[68:69]
	;; [unrolled: 1-line block ×5, first 2 shown]
	v_fma_f64 v[50:51], v[34:35], s[4:5], v[197:198]
	v_add_f64 v[46:47], v[58:59], v[62:63]
	v_add_f64 v[52:53], v[60:61], v[66:67]
	scratch_load_b64 v[66:67], off, off offset:80 ; 8-byte Folded Reload
	v_fma_f64 v[44:45], v[44:45], s[0:1], v[80:81]
	v_fma_f64 v[58:59], v[36:37], s[24:25], v[195:196]
	v_fma_f64 v[60:61], v[36:37], s[18:19], v[70:71]
	v_fma_f64 v[62:63], v[36:37], s[20:21], v[90:91]
	v_add_f64 v[54:55], v[64:65], v[68:69]
	scratch_load_b64 v[68:69], off, off offset:72 ; 8-byte Folded Reload
	v_fma_f64 v[64:65], v[34:35], s[30:31], v[72:73]
	v_add_f64 v[4:5], v[4:5], v[20:21]
	v_add_f64 v[18:19], v[18:19], v[32:33]
	v_fma_f64 v[32:33], v[28:29], s[42:43], v[40:41]
	v_fma_f64 v[40:41], v[28:29], s[6:7], v[78:79]
	v_add_f64 v[44:45], v[199:200], v[44:45]
	v_add_f64 v[20:21], v[58:59], v[46:47]
	;; [unrolled: 1-line block ×3, first 2 shown]
	scratch_load_b64 v[52:53], off, off offset:64 ; 8-byte Folded Reload
	v_add_f64 v[26:27], v[62:63], v[54:55]
	scratch_load_b64 v[54:55], off, off offset:56 ; 8-byte Folded Reload
	v_fma_f64 v[46:47], v[30:31], s[18:19], v[84:85]
	v_add_f64 v[12:13], v[64:65], v[12:13]
	v_add_f64 v[4:5], v[50:51], v[4:5]
	scratch_load_b64 v[50:51], off, off offset:40 ; 8-byte Folded Reload
	v_add_f64 v[42:43], v[42:43], v[44:45]
	v_fma_f64 v[44:45], v[30:31], s[24:25], v[74:75]
	v_add_f64 v[20:21], v[38:39], v[20:21]
	v_fma_f64 v[38:39], v[22:23], s[10:11], v[48:49]
	scratch_load_b64 v[48:49], off, off offset:48 ; 8-byte Folded Reload
	v_add_f64 v[26:27], v[46:47], v[26:27]
	v_add_f64 v[12:13], v[40:41], v[12:13]
	scratch_load_b64 v[40:41], off, off offset:32 ; 8-byte Folded Reload
	v_fma_f64 v[46:47], v[14:15], s[40:41], v[110:111]
	v_add_f64 v[4:5], v[32:33], v[4:5]
	v_fma_f64 v[32:33], v[10:11], s[16:17], v[138:139]
	v_add_f64 v[24:25], v[44:45], v[24:25]
	scratch_load_b64 v[44:45], off, off offset:176 ; 8-byte Folded Reload
	v_add_f64 v[20:21], v[38:39], v[20:21]
	scratch_load_b64 v[38:39], off, off offset:160 ; 8-byte Folded Reload
	v_add_f64 v[12:13], v[46:47], v[12:13]
	v_add_f64 v[20:21], v[32:33], v[20:21]
	v_fma_f64 v[32:33], v[6:7], s[12:13], v[98:99]
	s_waitcnt vmcnt(8)
	v_fma_f64 v[36:37], v[36:37], s[10:11], v[66:67]
	v_fma_f64 v[66:67], v[34:35], s[26:27], v[86:87]
	s_waitcnt vmcnt(7)
	v_fma_f64 v[34:35], v[34:35], s[50:51], v[68:69]
	s_delay_alu instid0(VALU_DEP_3) | instskip(SKIP_1) | instid1(VALU_DEP_4)
	v_add_f64 v[36:37], v[36:37], v[42:43]
	v_fma_f64 v[42:43], v[22:23], s[2:3], v[112:113]
	v_add_f64 v[16:17], v[66:67], v[16:17]
	s_waitcnt vmcnt(6)
	v_fma_f64 v[30:31], v[30:31], s[12:13], v[52:53]
	scratch_load_b64 v[52:53], off, off offset:184 ; 8-byte Folded Reload
	v_add_f64 v[18:19], v[34:35], v[18:19]
	v_fma_f64 v[34:35], v[14:15], s[22:23], v[140:141]
	v_add_f64 v[24:25], v[42:43], v[24:25]
	scratch_load_b64 v[42:43], off, off offset:152 ; 8-byte Folded Reload
	v_add_f64 v[30:31], v[30:31], v[36:37]
	v_fma_f64 v[36:37], v[10:11], s[0:1], v[106:107]
	v_add_f64 v[4:5], v[34:35], v[4:5]
	scratch_load_b64 v[34:35], off, off offset:136 ; 8-byte Folded Reload
	s_waitcnt vmcnt(4)
	v_fma_f64 v[44:45], v[22:23], s[16:17], v[44:45]
	v_fma_f64 v[22:23], v[22:23], s[24:25], v[48:49]
	scratch_load_b64 v[48:49], off, off offset:168 ; 8-byte Folded Reload
	v_add_f64 v[24:25], v[36:37], v[24:25]
	scratch_load_b64 v[36:37], off, off offset:16 ; 8-byte Folded Reload
	s_waitcnt vmcnt(5)
	v_fma_f64 v[38:39], v[10:11], s[24:25], v[38:39]
	v_add_f64 v[26:27], v[44:45], v[26:27]
	scratch_load_b64 v[44:45], off, off offset:24 ; 8-byte Folded Reload
	v_fma_f64 v[10:11], v[10:11], s[20:21], v[40:41]
	v_fma_f64 v[40:41], v[8:9], s[50:51], v[104:105]
	v_add_f64 v[22:23], v[22:23], v[30:31]
	v_fma_f64 v[30:31], v[6:7], s[20:21], v[128:129]
	v_add_f64 v[26:27], v[38:39], v[26:27]
	scratch_load_b64 v[38:39], off, off offset:128 ; 8-byte Folded Reload
	v_add_f64 v[12:13], v[40:41], v[12:13]
	s_waitcnt vmcnt(6)
	v_fma_f64 v[52:53], v[28:29], s[38:39], v[52:53]
	v_fma_f64 v[28:29], v[28:29], s[36:37], v[54:55]
	s_waitcnt vmcnt(5)
	v_fma_f64 v[42:43], v[8:9], s[14:15], v[42:43]
	s_delay_alu instid0(VALU_DEP_3) | instskip(NEXT) | instid1(VALU_DEP_3)
	v_add_f64 v[16:17], v[52:53], v[16:17]
	v_add_f64 v[18:19], v[28:29], v[18:19]
	v_fma_f64 v[28:29], v[8:9], s[28:29], v[56:57]
	s_waitcnt vmcnt(4)
	v_fma_f64 v[34:35], v[6:7], s[10:11], v[34:35]
	s_waitcnt vmcnt(3)
	v_fma_f64 v[48:49], v[14:15], s[30:31], v[48:49]
	v_fma_f64 v[14:15], v[14:15], s[34:35], v[50:51]
	s_delay_alu instid0(VALU_DEP_4)
	v_add_f64 v[4:5], v[28:29], v[4:5]
	scratch_load_b64 v[28:29], off, off offset:112 ; 8-byte Folded Reload
	v_add_f64 v[26:27], v[34:35], v[26:27]
	s_waitcnt vmcnt(2)
	v_fma_f64 v[8:9], v[8:9], s[22:23], v[44:45]
	scratch_load_b64 v[44:45], off, off offset:8 ; 8-byte Folded Reload
	v_fma_f64 v[6:7], v[6:7], s[16:17], v[36:37]
	v_add_f64 v[14:15], v[14:15], v[18:19]
	v_fma_f64 v[18:19], v[2:3], s[6:7], v[124:125]
	v_fma_f64 v[36:37], v[2:3], s[22:23], v[92:93]
	v_add_f64 v[16:17], v[48:49], v[16:17]
	s_waitcnt vmcnt(2)
	v_fma_f64 v[38:39], v[2:3], s[4:5], v[38:39]
	v_add_f64 v[14:15], v[8:9], v[14:15]
	s_delay_alu instid0(VALU_DEP_3)
	v_add_f64 v[16:17], v[42:43], v[16:17]
	v_add_nc_u32_e32 v42, 0x2d8, v146
	s_waitcnt vmcnt(0)
	v_fma_f64 v[44:45], v[2:3], s[26:27], v[44:45]
	v_add_f64 v[2:3], v[10:11], v[22:23]
	v_add_f64 v[10:11], v[30:31], v[20:21]
	scratch_load_b64 v[30:31], off, off     ; 8-byte Folded Reload
	v_fma_f64 v[22:23], v[0:1], s[2:3], v[120:121]
	v_add_f64 v[20:21], v[32:33], v[24:25]
	v_fma_f64 v[24:25], v[0:1], s[16:17], v[88:89]
	v_fma_f64 v[28:29], v[0:1], s[0:1], v[28:29]
	v_add_f64 v[14:15], v[44:45], v[14:15]
	v_add_f64 v[32:33], v[6:7], v[2:3]
	;; [unrolled: 1-line block ×4, first 2 shown]
	v_add_nc_u32_e32 v36, 0x30c, v146
	v_or_b32_e32 v37, 0x340, v146
	v_add_f64 v[4:5], v[24:25], v[20:21]
	s_delay_alu instid0(VALU_DEP_3)
	v_mad_u64_u32 v[24:25], null, s8, v36, 0
	s_waitcnt vmcnt(0)
	v_fma_f64 v[30:31], v[0:1], s[18:19], v[30:31]
	v_add_f64 v[0:1], v[22:23], v[10:11]
	v_mad_u64_u32 v[22:23], null, s8, v42, 0
	v_add_nc_u32_e32 v41, 0x2a4, v146
	s_delay_alu instid0(VALU_DEP_1) | instskip(NEXT) | instid1(VALU_DEP_1)
	v_mad_u64_u32 v[18:19], null, s8, v41, 0
	v_dual_mov_b32 v9, v19 :: v_dual_add_nc_u32 v40, 0x270, v146
	s_delay_alu instid0(VALU_DEP_1) | instskip(NEXT) | instid1(VALU_DEP_1)
	v_mad_u64_u32 v[34:35], null, s8, v40, 0
	v_mov_b32_e32 v8, v35
	s_delay_alu instid0(VALU_DEP_1) | instskip(SKIP_2) | instid1(VALU_DEP_3)
	v_mad_u64_u32 v[10:11], null, s9, v40, v[8:9]
	v_mov_b32_e32 v8, v23
	v_add_f64 v[12:13], v[30:31], v[32:33]
	v_mad_u64_u32 v[19:20], null, s9, v41, v[9:10]
	v_mov_b32_e32 v35, v10
	s_delay_alu instid0(VALU_DEP_4)
	v_mad_u64_u32 v[20:21], null, s9, v42, v[8:9]
	v_add_f64 v[10:11], v[38:39], v[16:17]
	v_add_f64 v[8:9], v[28:29], v[26:27]
	v_mad_u64_u32 v[16:17], null, s8, v37, 0
	v_mov_b32_e32 v21, v25
	v_lshlrev_b64 v[25:26], 4, v[34:35]
	v_lshlrev_b64 v[18:19], 4, v[18:19]
	v_mov_b32_e32 v23, v20
	s_delay_alu instid0(VALU_DEP_4) | instskip(NEXT) | instid1(VALU_DEP_4)
	v_mad_u64_u32 v[27:28], null, s9, v36, v[21:22]
	v_add_co_u32 v20, vcc_lo, v147, v25
	v_add_co_ci_u32_e32 v21, vcc_lo, v148, v26, vcc_lo
	v_mad_u64_u32 v[28:29], null, s9, v37, v[17:18]
	v_lshlrev_b64 v[22:23], 4, v[22:23]
	v_add_co_u32 v18, vcc_lo, v147, v18
	v_mov_b32_e32 v25, v27
	v_add_co_ci_u32_e32 v19, vcc_lo, v148, v19, vcc_lo
	s_delay_alu instid0(VALU_DEP_4) | instskip(NEXT) | instid1(VALU_DEP_3)
	v_add_co_u32 v22, vcc_lo, v147, v22
	v_lshlrev_b64 v[24:25], 4, v[24:25]
	v_mov_b32_e32 v17, v28
	v_add_co_ci_u32_e32 v23, vcc_lo, v148, v23, vcc_lo
	s_delay_alu instid0(VALU_DEP_3) | instskip(NEXT) | instid1(VALU_DEP_3)
	v_add_co_u32 v24, vcc_lo, v147, v24
	v_lshlrev_b64 v[16:17], 4, v[16:17]
	v_add_co_ci_u32_e32 v25, vcc_lo, v148, v25, vcc_lo
	s_delay_alu instid0(VALU_DEP_2) | instskip(NEXT) | instid1(VALU_DEP_3)
	v_add_co_u32 v16, vcc_lo, v147, v16
	v_add_co_ci_u32_e32 v17, vcc_lo, v148, v17, vcc_lo
	s_clause 0x4
	global_store_b128 v[20:21], v[149:152], off
	global_store_b128 v[18:19], v[0:3], off
	;; [unrolled: 1-line block ×5, first 2 shown]
	s_endpgm
	.section	.rodata,"a",@progbits
	.p2align	6, 0x0
	.amdhsa_kernel fft_rtc_fwd_len884_factors_13_4_17_wgs_204_tpt_68_halfLds_dp_ip_CI_sbrr_dirReg
		.amdhsa_group_segment_fixed_size 0
		.amdhsa_private_segment_fixed_size 196
		.amdhsa_kernarg_size 88
		.amdhsa_user_sgpr_count 15
		.amdhsa_user_sgpr_dispatch_ptr 0
		.amdhsa_user_sgpr_queue_ptr 0
		.amdhsa_user_sgpr_kernarg_segment_ptr 1
		.amdhsa_user_sgpr_dispatch_id 0
		.amdhsa_user_sgpr_private_segment_size 0
		.amdhsa_wavefront_size32 1
		.amdhsa_uses_dynamic_stack 0
		.amdhsa_enable_private_segment 1
		.amdhsa_system_sgpr_workgroup_id_x 1
		.amdhsa_system_sgpr_workgroup_id_y 0
		.amdhsa_system_sgpr_workgroup_id_z 0
		.amdhsa_system_sgpr_workgroup_info 0
		.amdhsa_system_vgpr_workitem_id 0
		.amdhsa_next_free_vgpr 256
		.amdhsa_next_free_sgpr 52
		.amdhsa_reserve_vcc 1
		.amdhsa_float_round_mode_32 0
		.amdhsa_float_round_mode_16_64 0
		.amdhsa_float_denorm_mode_32 3
		.amdhsa_float_denorm_mode_16_64 3
		.amdhsa_dx10_clamp 1
		.amdhsa_ieee_mode 1
		.amdhsa_fp16_overflow 0
		.amdhsa_workgroup_processor_mode 1
		.amdhsa_memory_ordered 1
		.amdhsa_forward_progress 0
		.amdhsa_shared_vgpr_count 0
		.amdhsa_exception_fp_ieee_invalid_op 0
		.amdhsa_exception_fp_denorm_src 0
		.amdhsa_exception_fp_ieee_div_zero 0
		.amdhsa_exception_fp_ieee_overflow 0
		.amdhsa_exception_fp_ieee_underflow 0
		.amdhsa_exception_fp_ieee_inexact 0
		.amdhsa_exception_int_div_zero 0
	.end_amdhsa_kernel
	.text
.Lfunc_end0:
	.size	fft_rtc_fwd_len884_factors_13_4_17_wgs_204_tpt_68_halfLds_dp_ip_CI_sbrr_dirReg, .Lfunc_end0-fft_rtc_fwd_len884_factors_13_4_17_wgs_204_tpt_68_halfLds_dp_ip_CI_sbrr_dirReg
                                        ; -- End function
	.section	.AMDGPU.csdata,"",@progbits
; Kernel info:
; codeLenInByte = 17384
; NumSgprs: 54
; NumVgprs: 256
; ScratchSize: 196
; MemoryBound: 1
; FloatMode: 240
; IeeeMode: 1
; LDSByteSize: 0 bytes/workgroup (compile time only)
; SGPRBlocks: 6
; VGPRBlocks: 31
; NumSGPRsForWavesPerEU: 54
; NumVGPRsForWavesPerEU: 256
; Occupancy: 5
; WaveLimiterHint : 1
; COMPUTE_PGM_RSRC2:SCRATCH_EN: 1
; COMPUTE_PGM_RSRC2:USER_SGPR: 15
; COMPUTE_PGM_RSRC2:TRAP_HANDLER: 0
; COMPUTE_PGM_RSRC2:TGID_X_EN: 1
; COMPUTE_PGM_RSRC2:TGID_Y_EN: 0
; COMPUTE_PGM_RSRC2:TGID_Z_EN: 0
; COMPUTE_PGM_RSRC2:TIDIG_COMP_CNT: 0
	.text
	.p2alignl 7, 3214868480
	.fill 96, 4, 3214868480
	.type	__hip_cuid_be282f48f3a3824c,@object ; @__hip_cuid_be282f48f3a3824c
	.section	.bss,"aw",@nobits
	.globl	__hip_cuid_be282f48f3a3824c
__hip_cuid_be282f48f3a3824c:
	.byte	0                               ; 0x0
	.size	__hip_cuid_be282f48f3a3824c, 1

	.ident	"AMD clang version 19.0.0git (https://github.com/RadeonOpenCompute/llvm-project roc-6.4.0 25133 c7fe45cf4b819c5991fe208aaa96edf142730f1d)"
	.section	".note.GNU-stack","",@progbits
	.addrsig
	.addrsig_sym __hip_cuid_be282f48f3a3824c
	.amdgpu_metadata
---
amdhsa.kernels:
  - .args:
      - .actual_access:  read_only
        .address_space:  global
        .offset:         0
        .size:           8
        .value_kind:     global_buffer
      - .offset:         8
        .size:           8
        .value_kind:     by_value
      - .actual_access:  read_only
        .address_space:  global
        .offset:         16
        .size:           8
        .value_kind:     global_buffer
      - .actual_access:  read_only
        .address_space:  global
        .offset:         24
        .size:           8
        .value_kind:     global_buffer
      - .offset:         32
        .size:           8
        .value_kind:     by_value
      - .actual_access:  read_only
        .address_space:  global
        .offset:         40
        .size:           8
        .value_kind:     global_buffer
      - .actual_access:  read_only
        .address_space:  global
        .offset:         48
        .size:           8
        .value_kind:     global_buffer
      - .offset:         56
        .size:           4
        .value_kind:     by_value
      - .actual_access:  read_only
        .address_space:  global
        .offset:         64
        .size:           8
        .value_kind:     global_buffer
      - .actual_access:  read_only
        .address_space:  global
        .offset:         72
        .size:           8
        .value_kind:     global_buffer
      - .address_space:  global
        .offset:         80
        .size:           8
        .value_kind:     global_buffer
    .group_segment_fixed_size: 0
    .kernarg_segment_align: 8
    .kernarg_segment_size: 88
    .language:       OpenCL C
    .language_version:
      - 2
      - 0
    .max_flat_workgroup_size: 204
    .name:           fft_rtc_fwd_len884_factors_13_4_17_wgs_204_tpt_68_halfLds_dp_ip_CI_sbrr_dirReg
    .private_segment_fixed_size: 196
    .sgpr_count:     54
    .sgpr_spill_count: 0
    .symbol:         fft_rtc_fwd_len884_factors_13_4_17_wgs_204_tpt_68_halfLds_dp_ip_CI_sbrr_dirReg.kd
    .uniform_work_group_size: 1
    .uses_dynamic_stack: false
    .vgpr_count:     256
    .vgpr_spill_count: 48
    .wavefront_size: 32
    .workgroup_processor_mode: 1
amdhsa.target:   amdgcn-amd-amdhsa--gfx1100
amdhsa.version:
  - 1
  - 2
...

	.end_amdgpu_metadata
